;; amdgpu-corpus repo=ROCm/rocFFT kind=compiled arch=gfx1030 opt=O3
	.text
	.amdgcn_target "amdgcn-amd-amdhsa--gfx1030"
	.amdhsa_code_object_version 6
	.protected	bluestein_single_back_len480_dim1_sp_op_CI_CI ; -- Begin function bluestein_single_back_len480_dim1_sp_op_CI_CI
	.globl	bluestein_single_back_len480_dim1_sp_op_CI_CI
	.p2align	8
	.type	bluestein_single_back_len480_dim1_sp_op_CI_CI,@function
bluestein_single_back_len480_dim1_sp_op_CI_CI: ; @bluestein_single_back_len480_dim1_sp_op_CI_CI
; %bb.0:
	s_load_dwordx4 s[8:11], s[4:5], 0x28
	v_lshrrev_b32_e32 v1, 4, v0
	v_mov_b32_e32 v109, 0
	s_mov_b64 s[22:23], s[2:3]
	s_mov_b64 s[20:21], s[0:1]
	s_mov_b32 s0, exec_lo
	v_lshl_or_b32 v152, s6, 2, v1
	v_mov_b32_e32 v153, v109
	s_add_u32 s20, s20, s7
	s_addc_u32 s21, s21, 0
	s_waitcnt lgkmcnt(0)
	v_cmpx_gt_u64_e64 s[8:9], v[152:153]
	s_cbranch_execz .LBB0_10
; %bb.1:
	s_clause 0x1
	s_load_dwordx4 s[0:3], s[4:5], 0x18
	s_load_dwordx4 s[12:15], s[4:5], 0x0
	v_and_b32_e32 v235, 15, v0
	v_mul_u32_u24_e32 v164, 0x1e0, v1
	v_or_b32_e32 v2, 0x150, v235
	v_or_b32_e32 v3, 0x180, v235
	;; [unrolled: 1-line block ×5, first 2 shown]
	v_lshlrev_b32_e32 v124, 3, v2
	v_lshlrev_b32_e32 v125, 3, v3
	;; [unrolled: 1-line block ×4, first 2 shown]
	v_or_b32_e32 v6, 0x130, v235
	v_lshlrev_b32_e32 v122, 3, v0
	v_or_b32_e32 v7, 0x160, v235
	v_or_b32_e32 v8, 0x190, v235
	s_waitcnt lgkmcnt(0)
	s_load_dwordx4 s[16:19], s[0:1], 0x0
	v_lshlrev_b32_e32 v126, 3, v6
	v_or_b32_e32 v9, 0x1c0, v235
	v_lshlrev_b32_e32 v123, 3, v7
	v_or_b32_e32 v10, 0x110, v235
	;; [unrolled: 2-line block ×6, first 2 shown]
	v_lshlrev_b32_e32 v121, 3, v12
	v_lshlrev_b32_e32 v114, 3, v235
	;; [unrolled: 1-line block ×3, first 2 shown]
	s_clause 0x1
	global_load_dwordx2 v[207:208], v114, s[12:13] offset:384
	global_load_dwordx2 v[201:202], v114, s[12:13] offset:1920
	s_waitcnt lgkmcnt(0)
	v_mad_u64_u32 v[2:3], null, s18, v152, 0
	v_mad_u64_u32 v[4:5], null, s16, v235, 0
	s_mul_i32 s0, s17, 0x180
	s_mul_hi_u32 s1, s16, 0x180
	s_mul_i32 s6, s16, 0x180
	s_add_i32 s1, s1, s0
	v_mov_b32_e32 v0, v3
	v_lshlrev_b32_e32 v116, 3, v14
	v_mov_b32_e32 v3, v5
	s_mul_i32 s0, s17, 0xfffff300
	s_clause 0x2
	global_load_dwordx2 v[199:200], v122, s[12:13]
	global_load_dwordx2 v[197:198], v124, s[12:13]
	;; [unrolled: 1-line block ×3, first 2 shown]
	v_mad_u64_u32 v[5:6], null, s19, v152, v[0:1]
	v_mad_u64_u32 v[6:7], null, s17, v235, v[3:4]
	s_sub_i32 s0, s0, s16
	s_clause 0x5
	global_load_dwordx2 v[193:194], v117, s[12:13]
	global_load_dwordx2 v[211:212], v114, s[12:13]
	global_load_dwordx2 v[191:192], v114, s[12:13] offset:128
	global_load_dwordx2 v[189:190], v114, s[12:13] offset:512
	;; [unrolled: 1-line block ×4, first 2 shown]
	v_mov_b32_e32 v3, v5
	s_clause 0x1
	global_load_dwordx2 v[205:206], v114, s[12:13] offset:1152
	global_load_dwordx2 v[185:186], v114, s[12:13] offset:1280
	v_mov_b32_e32 v5, v6
	s_clause 0x4
	global_load_dwordx2 v[203:204], v114, s[12:13] offset:1536
	global_load_dwordx2 v[183:184], v114, s[12:13] offset:1664
	global_load_dwordx2 v[181:182], v128, s[12:13]
	global_load_dwordx2 v[179:180], v126, s[12:13]
	;; [unrolled: 1-line block ×3, first 2 shown]
	v_lshlrev_b64 v[2:3], 3, v[2:3]
	v_lshlrev_b64 v[4:5], 3, v[4:5]
	v_or_b32_e32 v1, v164, v235
	v_lshl_or_b32 v236, v164, 3, v114
	v_or_b32_e32 v130, 16, v235
	v_or_b32_e32 v129, 32, v235
	v_add_co_u32 v0, vcc_lo, s10, v2
	v_add_co_ci_u32_e32 v3, vcc_lo, s11, v3, vcc_lo
	v_lshlrev_b32_e32 v232, 3, v1
	v_add_co_u32 v2, vcc_lo, v0, v4
	v_add_co_ci_u32_e32 v3, vcc_lo, v3, v5, vcc_lo
	v_add_nc_u32_e32 v104, 0x800, v236
	v_add_co_u32 v4, vcc_lo, v2, s6
	v_add_co_ci_u32_e32 v5, vcc_lo, s1, v3, vcc_lo
	global_load_dwordx2 v[2:3], v[2:3], off
	v_add_co_u32 v6, vcc_lo, v4, s6
	v_add_co_ci_u32_e32 v7, vcc_lo, s1, v5, vcc_lo
	global_load_dwordx2 v[4:5], v[4:5], off
	v_add_co_u32 v8, vcc_lo, v6, s6
	v_add_co_ci_u32_e32 v9, vcc_lo, s1, v7, vcc_lo
	s_clause 0x1
	global_load_dwordx2 v[175:176], v127, s[12:13]
	global_load_dwordx2 v[171:172], v118, s[12:13]
	global_load_dwordx2 v[6:7], v[6:7], off
	v_add_co_u32 v10, vcc_lo, v8, s6
	v_add_co_ci_u32_e32 v11, vcc_lo, s1, v9, vcc_lo
	global_load_dwordx2 v[8:9], v[8:9], off
	v_add_co_u32 v12, vcc_lo, v10, s6
	v_add_co_ci_u32_e32 v13, vcc_lo, s1, v11, vcc_lo
	global_load_dwordx2 v[165:166], v114, s[12:13] offset:256
	v_add_co_u32 v14, vcc_lo, v12, s6
	v_add_co_ci_u32_e32 v15, vcc_lo, s1, v13, vcc_lo
	v_add_nc_u32_e32 v63, 0x400, v236
	v_add_co_u32 v16, vcc_lo, v14, s6
	v_add_co_ci_u32_e32 v17, vcc_lo, s1, v15, vcc_lo
	global_load_dwordx2 v[10:11], v[10:11], off
	global_load_dwordx2 v[12:13], v[12:13], off
	;; [unrolled: 1-line block ×3, first 2 shown]
	v_add_co_u32 v18, vcc_lo, v16, s6
	v_add_co_ci_u32_e32 v19, vcc_lo, s1, v17, vcc_lo
	global_load_dwordx2 v[16:17], v[16:17], off
	v_add_co_u32 v20, vcc_lo, v18, s6
	v_add_co_ci_u32_e32 v21, vcc_lo, s1, v19, vcc_lo
	global_load_dwordx2 v[18:19], v[18:19], off
	v_mad_u64_u32 v[22:23], null, 0xfffff300, s16, v[20:21]
	global_load_dwordx2 v[20:21], v[20:21], off
	v_add_nc_u32_e32 v23, s0, v23
	v_add_co_u32 v24, vcc_lo, v22, s6
	v_add_co_ci_u32_e32 v25, vcc_lo, s1, v23, vcc_lo
	v_add_co_u32 v26, vcc_lo, v24, s6
	global_load_dwordx2 v[22:23], v[22:23], off
	v_add_co_ci_u32_e32 v27, vcc_lo, s1, v25, vcc_lo
	v_add_co_u32 v28, vcc_lo, v26, s6
	global_load_dwordx2 v[24:25], v[24:25], off
	;; [unrolled: 3-line block ×6, first 2 shown]
	v_add_co_ci_u32_e32 v37, vcc_lo, s1, v35, vcc_lo
	v_add_co_u32 v38, vcc_lo, v36, s6
	s_clause 0x2
	global_load_dwordx2 v[177:178], v114, s[12:13] offset:640
	global_load_dwordx2 v[167:168], v114, s[12:13] offset:1408
	;; [unrolled: 1-line block ×3, first 2 shown]
	v_add_co_ci_u32_e32 v39, vcc_lo, s1, v37, vcc_lo
	v_add_co_u32 v40, vcc_lo, v38, s6
	v_add_co_ci_u32_e32 v41, vcc_lo, s1, v39, vcc_lo
	global_load_dwordx2 v[36:37], v[36:37], off
	global_load_dwordx2 v[70:71], v114, s[12:13] offset:1792
	global_load_dwordx2 v[34:35], v[34:35], off
	s_clause 0x2
	global_load_dwordx2 v[68:69], v119, s[12:13]
	global_load_dwordx2 v[66:67], v120, s[12:13]
	;; [unrolled: 1-line block ×3, first 2 shown]
	global_load_dwordx2 v[38:39], v[38:39], off
	v_mad_u64_u32 v[42:43], null, 0xfffff300, s16, v[40:41]
	global_load_dwordx2 v[40:41], v[40:41], off
	v_add_nc_u32_e32 v43, s0, v43
	v_add_co_u32 v44, vcc_lo, v42, s6
	v_add_co_ci_u32_e32 v45, vcc_lo, s1, v43, vcc_lo
	v_add_co_u32 v46, vcc_lo, v44, s6
	global_load_dwordx2 v[42:43], v[42:43], off
	v_add_co_ci_u32_e32 v47, vcc_lo, s1, v45, vcc_lo
	v_add_co_u32 v48, vcc_lo, v46, s6
	global_load_dwordx2 v[44:45], v[44:45], off
	;; [unrolled: 3-line block ×4, first 2 shown]
	v_add_co_ci_u32_e32 v53, vcc_lo, s1, v51, vcc_lo
	global_load_dwordx2 v[50:51], v[50:51], off
	v_add_co_u32 v54, vcc_lo, v52, s6
	v_add_co_ci_u32_e32 v55, vcc_lo, s1, v53, vcc_lo
	global_load_dwordx2 v[52:53], v[52:53], off
	v_add_co_u32 v56, vcc_lo, v54, s6
	;; [unrolled: 3-line block ×4, first 2 shown]
	v_add_co_ci_u32_e32 v61, vcc_lo, s1, v59, vcc_lo
	global_load_dwordx2 v[72:73], v115, s[12:13]
	global_load_dwordx2 v[58:59], v[58:59], off
	global_load_dwordx2 v[74:75], v116, s[12:13]
	global_load_dwordx2 v[60:61], v[60:61], off
	s_load_dwordx4 s[8:11], s[2:3], 0x0
	s_load_dwordx2 s[2:3], s[4:5], 0x38
	s_waitcnt vmcnt(41)
	v_mul_f32_e32 v0, v3, v212
	v_mul_f32_e32 v62, v2, v212
	v_fmac_f32_e32 v0, v2, v211
	s_waitcnt vmcnt(40)
	v_mul_f32_e32 v2, v5, v208
	v_fma_f32 v1, v3, v211, -v62
	v_mul_f32_e32 v3, v4, v208
	v_fmac_f32_e32 v2, v4, v207
	ds_write_b64 v232, v[0:1]
	v_fma_f32 v3, v5, v207, -v3
	s_waitcnt vmcnt(37)
	v_mul_f32_e32 v0, v7, v210
	s_waitcnt vmcnt(36)
	v_mul_f32_e32 v4, v9, v206
	v_mul_f32_e32 v5, v8, v206
	;; [unrolled: 1-line block ×3, first 2 shown]
	v_fmac_f32_e32 v0, v6, v209
	v_fmac_f32_e32 v4, v8, v205
	v_fma_f32 v5, v9, v205, -v5
	v_fma_f32 v1, v7, v209, -v1
	s_waitcnt vmcnt(34)
	v_mul_f32_e32 v6, v11, v204
	s_waitcnt vmcnt(33)
	v_mul_f32_e32 v8, v13, v202
	v_mul_f32_e32 v9, v12, v202
	;; [unrolled: 1-line block ×3, first 2 shown]
	v_fmac_f32_e32 v6, v10, v203
	v_fmac_f32_e32 v8, v12, v201
	s_waitcnt vmcnt(31)
	v_mul_f32_e32 v12, v17, v198
	v_fma_f32 v9, v13, v201, -v9
	v_mul_f32_e32 v13, v16, v198
	v_mul_f32_e32 v10, v15, v200
	v_fma_f32 v7, v11, v203, -v7
	v_fmac_f32_e32 v12, v16, v197
	v_mul_f32_e32 v11, v14, v200
	v_fma_f32 v13, v17, v197, -v13
	v_fmac_f32_e32 v10, v14, v199
	s_waitcnt vmcnt(30)
	v_mul_f32_e32 v14, v19, v196
	s_waitcnt vmcnt(29)
	v_mul_f32_e32 v16, v21, v194
	v_mul_f32_e32 v17, v20, v194
	v_fma_f32 v11, v15, v199, -v11
	v_mul_f32_e32 v15, v18, v196
	v_fmac_f32_e32 v14, v18, v195
	v_fmac_f32_e32 v16, v20, v193
	v_fma_f32 v17, v21, v193, -v17
	v_fma_f32 v15, v19, v195, -v15
	s_waitcnt vmcnt(28)
	v_mul_f32_e32 v18, v23, v192
	v_mul_f32_e32 v19, v22, v192
	s_waitcnt vmcnt(27)
	v_mul_f32_e32 v20, v25, v190
	v_mul_f32_e32 v62, v24, v190
	v_fmac_f32_e32 v18, v22, v191
	v_fma_f32 v19, v23, v191, -v19
	v_fmac_f32_e32 v20, v24, v189
	v_fma_f32 v21, v25, v189, -v62
	s_waitcnt vmcnt(26)
	v_mul_f32_e32 v22, v27, v188
	v_mul_f32_e32 v23, v26, v188
	s_waitcnt vmcnt(25)
	v_mul_f32_e32 v24, v29, v186
	v_mul_f32_e32 v25, v28, v186
	ds_write2_b64 v236, v[2:3], v[20:21] offset0:48 offset1:64
	v_fmac_f32_e32 v22, v26, v187
	v_fma_f32 v23, v27, v187, -v23
	v_fmac_f32_e32 v24, v28, v185
	v_fma_f32 v25, v29, v185, -v25
	s_waitcnt vmcnt(24)
	v_mul_f32_e32 v2, v31, v184
	v_mul_f32_e32 v3, v30, v184
	s_waitcnt vmcnt(23)
	v_mul_f32_e32 v20, v33, v182
	ds_write2_b64 v236, v[4:5], v[24:25] offset0:144 offset1:160
	v_mul_f32_e32 v21, v32, v182
	v_fmac_f32_e32 v2, v30, v183
	v_fma_f32 v3, v31, v183, -v3
	v_fmac_f32_e32 v20, v32, v181
	s_waitcnt vmcnt(19)
	v_mul_f32_e32 v4, v37, v174
	v_mul_f32_e32 v5, v36, v174
	v_fma_f32 v21, v33, v181, -v21
	s_waitcnt vmcnt(17)
	v_mul_f32_e32 v24, v35, v180
	v_mul_f32_e32 v25, v34, v180
	v_fmac_f32_e32 v4, v36, v173
	v_fma_f32 v5, v37, v173, -v5
	ds_write2_b64 v63, v[8:9], v[20:21] offset0:112 offset1:128
	s_waitcnt vmcnt(13)
	v_mul_f32_e32 v8, v39, v176
	v_mul_f32_e32 v9, v38, v176
	v_fmac_f32_e32 v24, v34, v179
	ds_write2_b64 v104, v[12:13], v[4:5] offset0:80 offset1:96
	s_waitcnt vmcnt(12)
	v_mul_f32_e32 v4, v41, v172
	v_mul_f32_e32 v5, v40, v172
	v_fma_f32 v25, v35, v179, -v25
	v_fmac_f32_e32 v8, v38, v175
	v_fma_f32 v9, v39, v175, -v9
	v_fmac_f32_e32 v4, v40, v171
	v_fma_f32 v5, v41, v171, -v5
	ds_write2_b64 v104, v[16:17], v[4:5] offset0:176 offset1:192
	s_waitcnt vmcnt(11)
	v_mul_f32_e32 v12, v43, v166
	v_mul_f32_e32 v13, v42, v166
	s_waitcnt vmcnt(10)
	v_mul_f32_e32 v20, v45, v178
	v_mul_f32_e32 v5, v44, v178
	v_fmac_f32_e32 v12, v42, v165
	v_fma_f32 v13, v43, v165, -v13
	v_fmac_f32_e32 v20, v44, v177
	v_fma_f32 v21, v45, v177, -v5
	s_waitcnt vmcnt(9)
	v_mul_f32_e32 v4, v47, v170
	ds_write2_b64 v236, v[18:19], v[12:13] offset0:16 offset1:32
	v_mul_f32_e32 v13, v46, v170
	s_waitcnt vmcnt(8)
	v_mul_f32_e32 v17, v48, v168
	ds_write2_b64 v236, v[20:21], v[0:1] offset0:80 offset1:96
	v_mul_f32_e32 v12, v49, v168
	s_waitcnt vmcnt(7)
	v_mul_f32_e32 v16, v51, v71
	v_mul_f32_e32 v18, v50, v71
	v_fmac_f32_e32 v4, v46, v169
	v_fma_f32 v5, v47, v169, -v13
	v_fma_f32 v13, v49, v167, -v17
	v_fmac_f32_e32 v16, v50, v70
	buffer_store_dword v70, off, s[20:23], 0 offset:24 ; 4-byte Folded Spill
	buffer_store_dword v71, off, s[20:23], 0 offset:28 ; 4-byte Folded Spill
	v_fmac_f32_e32 v12, v48, v167
	s_waitcnt vmcnt(6)
	v_mul_f32_e32 v0, v53, v69
	ds_write2_b64 v236, v[22:23], v[4:5] offset0:112 offset1:128
	ds_write2_b64 v236, v[12:13], v[6:7] offset0:176 offset1:192
	v_mul_f32_e32 v1, v52, v69
	v_fmac_f32_e32 v0, v52, v68
	s_waitcnt vmcnt(4)
	v_mul_f32_e32 v4, v57, v65
	v_mul_f32_e32 v5, v56, v65
	s_waitcnt vmcnt(2)
	v_mul_f32_e32 v6, v59, v73
	v_mul_f32_e32 v7, v58, v73
	s_waitcnt vmcnt(0)
	v_mul_f32_e32 v12, v61, v75
	v_fmac_f32_e32 v4, v56, v64
	v_mul_f32_e32 v13, v60, v75
	v_fmac_f32_e32 v6, v58, v72
	v_fmac_f32_e32 v12, v60, v74
	v_fma_f32 v17, v51, v70, -v18
	ds_write2_b64 v236, v[2:3], v[16:17] offset0:208 offset1:224
	v_mul_f32_e32 v2, v55, v67
	buffer_store_dword v68, off, s[20:23], 0 offset:16 ; 4-byte Folded Spill
	buffer_store_dword v69, off, s[20:23], 0 offset:20 ; 4-byte Folded Spill
	v_mul_f32_e32 v3, v54, v67
	v_fmac_f32_e32 v2, v54, v66
	buffer_store_dword v66, off, s[20:23], 0 offset:8 ; 4-byte Folded Spill
	buffer_store_dword v67, off, s[20:23], 0 offset:12 ; 4-byte Folded Spill
	buffer_store_dword v64, off, s[20:23], 0 ; 4-byte Folded Spill
	buffer_store_dword v65, off, s[20:23], 0 offset:4 ; 4-byte Folded Spill
	buffer_store_dword v72, off, s[20:23], 0 offset:32 ; 4-byte Folded Spill
	;; [unrolled: 1-line block ×5, first 2 shown]
	v_fma_f32 v1, v53, v68, -v1
	v_fma_f32 v3, v55, v66, -v3
	;; [unrolled: 1-line block ×5, first 2 shown]
	ds_write2_b64 v104, v[0:1], v[10:11] offset0:16 offset1:32
	ds_write2_b64 v104, v[24:25], v[2:3] offset0:48 offset1:64
	;; [unrolled: 1-line block ×4, first 2 shown]
	ds_write_b64 v236, v[12:13] offset:3712
	s_waitcnt lgkmcnt(0)
	s_waitcnt_vscnt null, 0x0
	s_barrier
	buffer_gl0_inv
	ds_read2_b64 v[0:3], v236 offset0:80 offset1:96
	ds_read2_b64 v[12:15], v236 offset0:176 offset1:192
	ds_read_b64 v[58:59], v232
	ds_read2_b64 v[16:19], v104 offset0:16 offset1:32
	ds_read2_b64 v[8:11], v104 offset0:112 offset1:128
	;; [unrolled: 1-line block ×12, first 2 shown]
	ds_read_b64 v[56:57], v236 offset:3712
	s_waitcnt lgkmcnt(0)
	s_barrier
	buffer_gl0_inv
	v_add_f32_e32 v76, v36, v48
	v_add_f32_e32 v85, v37, v49
	;; [unrolled: 1-line block ×5, first 2 shown]
	v_sub_f32_e32 v64, v2, v14
	v_add_f32_e32 v60, v58, v2
	v_add_f32_e32 v61, v14, v18
	v_sub_f32_e32 v65, v10, v18
	v_sub_f32_e32 v67, v14, v2
	;; [unrolled: 1-line block ×3, first 2 shown]
	v_add_f32_e32 v69, v59, v3
	v_sub_f32_e32 v62, v3, v11
	v_sub_f32_e32 v63, v15, v19
	v_add_f32_e32 v70, v15, v19
	v_sub_f32_e32 v71, v14, v18
	v_sub_f32_e32 v72, v3, v15
	;; [unrolled: 3-line block ×3, first 2 shown]
	v_sub_f32_e32 v79, v53, v45
	v_sub_f32_e32 v80, v48, v52
	v_add_f32_e32 v82, v48, v40
	v_sub_f32_e32 v83, v52, v48
	v_sub_f32_e32 v87, v52, v44
	;; [unrolled: 1-line block ×4, first 2 shown]
	v_add_f32_e32 v14, v60, v14
	v_fma_f32 v136, -0.5, v61, v58
	v_add_f32_e32 v60, v64, v65
	v_add_f32_e32 v61, v67, v68
	;; [unrolled: 1-line block ×4, first 2 shown]
	v_fma_f32 v65, -0.5, v77, v36
	v_add_f32_e32 v53, v85, v53
	v_fma_f32 v68, -0.5, v86, v37
	v_fma_f32 v37, -0.5, v90, v37
	v_add_f32_e32 v66, v2, v10
	v_sub_f32_e32 v73, v11, v19
	v_sub_f32_e32 v75, v19, v11
	;; [unrolled: 1-line block ×6, first 2 shown]
	v_add_f32_e32 v92, v4, v20
	v_add_f32_e32 v93, v24, v28
	;; [unrolled: 1-line block ×7, first 2 shown]
	v_fma_f32 v137, -0.5, v70, v59
	v_fmac_f32_e32 v59, -0.5, v74
	v_fma_f32 v36, -0.5, v82, v36
	v_add_f32_e32 v14, v14, v18
	v_add_f32_e32 v15, v15, v19
	;; [unrolled: 1-line block ×3, first 2 shown]
	v_fmamk_f32 v44, v78, 0x3f737871, v65
	v_add_f32_e32 v19, v53, v45
	v_fmamk_f32 v53, v87, 0x3f737871, v37
	v_sub_f32_e32 v2, v2, v10
	v_sub_f32_e32 v89, v41, v45
	;; [unrolled: 1-line block ×9, first 2 shown]
	v_fma_f32 v58, -0.5, v66, v58
	v_add_f32_e32 v64, v72, v73
	v_add_f32_e32 v3, v3, v75
	v_add_f32_e32 v66, v80, v81
	v_add_f32_e32 v49, v49, v91
	v_add_f32_e32 v24, v92, v24
	v_fma_f32 v73, -0.5, v93, v4
	v_fma_f32 v75, -0.5, v98, v4
	v_add_f32_e32 v4, v101, v25
	v_fma_f32 v25, -0.5, v102, v5
	v_fma_f32 v77, -0.5, v107, v5
	v_add_f32_e32 v5, v110, v54
	v_fmamk_f32 v85, v71, 0x3f737871, v59
	v_fmac_f32_e32 v59, 0xbf737871, v71
	v_fmamk_f32 v52, v79, 0xbf737871, v36
	v_fmamk_f32 v45, v48, 0xbf737871, v68
	v_fmac_f32_e32 v37, 0xbf737871, v87
	v_fmac_f32_e32 v44, 0x3f167918, v79
	;; [unrolled: 1-line block ×3, first 2 shown]
	v_add_f32_e32 v67, v83, v84
	v_add_f32_e32 v69, v88, v89
	v_fmamk_f32 v82, v62, 0x3f737871, v136
	v_fmamk_f32 v83, v63, 0xbf737871, v58
	;; [unrolled: 1-line block ×3, first 2 shown]
	v_fmac_f32_e32 v137, 0x3f737871, v2
	v_fmac_f32_e32 v65, 0xbf737871, v78
	;; [unrolled: 1-line block ×4, first 2 shown]
	v_add_f32_e32 v24, v24, v28
	v_add_f32_e32 v4, v4, v29
	;; [unrolled: 1-line block ×5, first 2 shown]
	v_fmac_f32_e32 v85, 0xbf167918, v2
	v_fmac_f32_e32 v59, 0x3f167918, v2
	v_add_f32_e32 v2, v18, v40
	v_fmac_f32_e32 v52, 0x3f167918, v78
	v_add_f32_e32 v14, v19, v41
	v_fmac_f32_e32 v45, 0xbf167918, v87
	v_fmac_f32_e32 v37, 0x3f167918, v48
	;; [unrolled: 1-line block ×4, first 2 shown]
	v_sub_f32_e32 v97, v32, v28
	v_sub_f32_e32 v100, v28, v32
	;; [unrolled: 1-line block ×4, first 2 shown]
	v_add_f32_e32 v133, v50, v42
	v_fmac_f32_e32 v136, 0xbf737871, v62
	v_fmamk_f32 v88, v103, 0x3f737871, v77
	v_fmac_f32_e32 v77, 0xbf737871, v103
	v_fmac_f32_e32 v82, 0x3f167918, v63
	v_fmac_f32_e32 v83, 0x3f167918, v62
	v_fmac_f32_e32 v65, 0xbf167918, v79
	v_fmac_f32_e32 v36, 0xbf167918, v78
	v_fmac_f32_e32 v68, 0x3f167918, v87
	v_add_f32_e32 v15, v24, v32
	v_add_f32_e32 v24, v4, v33
	;; [unrolled: 1-line block ×3, first 2 shown]
	v_fmac_f32_e32 v52, 0x3e9e377a, v67
	v_fmac_f32_e32 v45, 0x3e9e377a, v69
	;; [unrolled: 1-line block ×3, first 2 shown]
	v_add_f32_e32 v18, v10, v2
	v_add_f32_e32 v19, v11, v14
	v_sub_f32_e32 v4, v10, v2
	v_sub_f32_e32 v5, v11, v14
	v_mul_f32_e32 v10, 0x3f4f1bbd, v44
	v_mul_f32_e32 v11, 0x3f737871, v53
	v_sub_f32_e32 v106, v33, v29
	v_add_f32_e32 v111, v54, v46
	v_sub_f32_e32 v113, v55, v47
	v_add_f32_e32 v21, v21, v108
	v_fma_f32 v81, -0.5, v133, v38
	v_fmac_f32_e32 v58, 0x3f737871, v63
	v_fmamk_f32 v29, v20, 0xbf737871, v25
	v_fmac_f32_e32 v25, 0x3f737871, v20
	v_fmac_f32_e32 v136, 0xbf167918, v63
	;; [unrolled: 1-line block ×11, first 2 shown]
	v_mul_f32_e32 v14, 0xbf167918, v44
	v_mul_f32_e32 v33, 0xbf737871, v52
	;; [unrolled: 1-line block ×3, first 2 shown]
	v_fmac_f32_e32 v10, 0x3f167918, v45
	v_fmac_f32_e32 v11, 0x3e9e377a, v52
	v_sub_f32_e32 v112, v51, v43
	v_sub_f32_e32 v134, v54, v50
	;; [unrolled: 1-line block ×3, first 2 shown]
	v_fma_f32 v76, -0.5, v111, v38
	v_fmamk_f32 v28, v94, 0x3f737871, v73
	v_fmac_f32_e32 v73, 0xbf737871, v94
	v_fmamk_f32 v90, v113, 0xbf737871, v81
	v_fmac_f32_e32 v81, 0x3f737871, v113
	v_fmac_f32_e32 v58, 0xbf167918, v62
	;; [unrolled: 1-line block ×9, first 2 shown]
	v_mul_f32_e32 v2, 0x3e9e377a, v36
	v_mul_f32_e32 v3, 0x3f4f1bbd, v65
	;; [unrolled: 1-line block ×3, first 2 shown]
	v_fmac_f32_e32 v14, 0x3f4f1bbd, v45
	v_fmac_f32_e32 v33, 0x3e9e377a, v53
	v_fma_f32 v36, 0xbf737871, v36, -v20
	v_add_f32_e32 v20, v82, v10
	v_add_f32_e32 v60, v83, v11
	v_sub_f32_e32 v64, v82, v10
	v_sub_f32_e32 v66, v83, v11
	v_add_f32_e32 v10, v55, v47
	v_add_f32_e32 v11, v51, v43
	v_sub_f32_e32 v131, v50, v54
	v_sub_f32_e32 v132, v42, v46
	v_add_f32_e32 v70, v96, v97
	v_add_f32_e32 v38, v134, v135
	v_fmamk_f32 v89, v112, 0x3f737871, v76
	v_fmac_f32_e32 v28, 0x3f167918, v95
	v_fmac_f32_e32 v73, 0xbf167918, v95
	;; [unrolled: 1-line block ×4, first 2 shown]
	v_fma_f32 v37, 0x3f737871, v37, -v2
	v_fma_f32 v40, 0x3f167918, v68, -v3
	;; [unrolled: 1-line block ×3, first 2 shown]
	v_add_f32_e32 v21, v84, v14
	v_add_f32_e32 v61, v85, v33
	;; [unrolled: 1-line block ×3, first 2 shown]
	v_sub_f32_e32 v65, v84, v14
	v_sub_f32_e32 v67, v85, v33
	;; [unrolled: 1-line block ×3, first 2 shown]
	v_fmac_f32_e32 v81, 0xbf167918, v112
	v_add_f32_e32 v14, v39, v51
	v_fma_f32 v10, -0.5, v10, v39
	v_sub_f32_e32 v33, v50, v42
	v_sub_f32_e32 v36, v54, v46
	v_fmac_f32_e32 v39, -0.5, v11
	v_add_f32_e32 v80, v131, v132
	v_fmac_f32_e32 v76, 0xbf737871, v112
	v_fmac_f32_e32 v89, 0x3f167918, v113
	v_fmac_f32_e32 v28, 0x3e9e377a, v70
	v_fmac_f32_e32 v73, 0x3e9e377a, v70
	v_add_f32_e32 v62, v58, v37
	v_add_f32_e32 v2, v136, v40
	;; [unrolled: 1-line block ×3, first 2 shown]
	v_sub_f32_e32 v68, v58, v37
	v_sub_f32_e32 v70, v136, v40
	;; [unrolled: 1-line block ×3, first 2 shown]
	v_fmac_f32_e32 v90, 0x3e9e377a, v38
	v_fmac_f32_e32 v81, 0x3e9e377a, v38
	v_add_f32_e32 v11, v14, v55
	v_fmamk_f32 v14, v33, 0xbf737871, v10
	v_sub_f32_e32 v37, v51, v55
	v_fmamk_f32 v41, v36, 0x3f737871, v39
	v_sub_f32_e32 v38, v55, v51
	v_sub_f32_e32 v40, v47, v43
	;; [unrolled: 1-line block ×3, first 2 shown]
	v_fmac_f32_e32 v76, 0xbf167918, v113
	v_fmac_f32_e32 v89, 0x3e9e377a, v80
	;; [unrolled: 1-line block ×5, first 2 shown]
	v_add_f32_e32 v38, v38, v40
	v_add_f32_e32 v37, v37, v42
	v_fmac_f32_e32 v10, 0x3f737871, v33
	v_fmamk_f32 v86, v95, 0xbf737871, v75
	v_fmac_f32_e32 v75, 0x3f737871, v95
	v_fmac_f32_e32 v76, 0x3e9e377a, v80
	;; [unrolled: 1-line block ×6, first 2 shown]
	v_mul_f32_e32 v33, 0x3f4f1bbd, v89
	v_add_f32_e32 v72, v99, v100
	v_fmac_f32_e32 v86, 0x3f167918, v94
	v_fmac_f32_e32 v75, 0xbf167918, v94
	v_add_f32_e32 v11, v11, v47
	v_fmac_f32_e32 v39, 0x3e9e377a, v38
	v_mul_f32_e32 v47, 0x3f737871, v41
	v_fmac_f32_e32 v10, 0x3e9e377a, v37
	v_fmac_f32_e32 v33, 0x3f167918, v14
	v_mul_f32_e32 v37, 0x3f4f1bbd, v76
	v_add_f32_e32 v74, v105, v106
	v_fmac_f32_e32 v29, 0xbf167918, v103
	v_fmac_f32_e32 v25, 0x3f167918, v103
	;; [unrolled: 1-line block ×4, first 2 shown]
	v_mul_f32_e32 v36, 0x3e9e377a, v81
	v_add_f32_e32 v11, v11, v43
	v_fmac_f32_e32 v47, 0x3e9e377a, v90
	v_add_f32_e32 v38, v28, v33
	v_fma_f32 v49, 0x3f167918, v10, -v37
	v_mul_f32_e32 v50, 0xbf167918, v89
	v_mul_f32_e32 v37, 0x3e9e377a, v39
	v_sub_f32_e32 v72, v28, v33
	v_add_f32_e32 v28, v6, v22
	v_fmac_f32_e32 v29, 0x3e9e377a, v74
	v_fmac_f32_e32 v25, 0x3e9e377a, v74
	v_fma_f32 v48, 0x3f737871, v39, -v36
	v_add_f32_e32 v36, v15, v32
	v_add_f32_e32 v40, v86, v47
	v_mul_f32_e32 v10, 0x3f4f1bbd, v10
	v_fmac_f32_e32 v50, 0x3f4f1bbd, v14
	v_fma_f32 v14, 0xbf737871, v81, -v37
	v_add_f32_e32 v37, v24, v11
	v_sub_f32_e32 v46, v15, v32
	v_add_f32_e32 v15, v26, v30
	v_sub_f32_e32 v74, v86, v47
	v_sub_f32_e32 v47, v24, v11
	v_add_f32_e32 v11, v28, v26
	v_add_f32_e32 v44, v73, v49
	v_fma_f32 v10, 0xbf167918, v76, -v10
	v_add_f32_e32 v39, v29, v50
	v_sub_f32_e32 v78, v73, v49
	v_fma_f32 v32, -0.5, v15, v6
	v_sub_f32_e32 v15, v23, v35
	v_sub_f32_e32 v73, v29, v50
	;; [unrolled: 1-line block ×4, first 2 shown]
	v_add_f32_e32 v11, v11, v30
	v_add_f32_e32 v42, v75, v48
	;; [unrolled: 1-line block ×4, first 2 shown]
	v_sub_f32_e32 v76, v75, v48
	v_fmamk_f32 v24, v15, 0x3f737871, v32
	v_sub_f32_e32 v28, v27, v31
	v_add_f32_e32 v48, v22, v34
	v_sub_f32_e32 v77, v77, v14
	v_add_f32_e32 v14, v29, v33
	;; [unrolled: 2-line block ×3, first 2 shown]
	v_fmac_f32_e32 v32, 0xbf737871, v15
	v_sub_f32_e32 v10, v26, v22
	v_sub_f32_e32 v11, v30, v34
	v_add_f32_e32 v33, v7, v23
	v_fmac_f32_e32 v24, 0x3f167918, v28
	v_fma_f32 v6, -0.5, v48, v6
	v_fmac_f32_e32 v32, 0xbf167918, v28
	v_add_f32_e32 v48, v27, v31
	v_add_f32_e32 v10, v10, v11
	;; [unrolled: 1-line block ×3, first 2 shown]
	v_fmac_f32_e32 v24, 0x3e9e377a, v14
	v_fmamk_f32 v29, v28, 0xbf737871, v6
	v_fmac_f32_e32 v6, 0x3f737871, v28
	v_fma_f32 v28, -0.5, v48, v7
	v_sub_f32_e32 v22, v22, v34
	v_fmac_f32_e32 v32, 0x3e9e377a, v14
	v_add_f32_e32 v11, v11, v31
	v_add_f32_e32 v14, v23, v35
	v_fmac_f32_e32 v29, 0x3f167918, v15
	v_fmac_f32_e32 v6, 0xbf167918, v15
	v_fmamk_f32 v33, v22, 0xbf737871, v28
	v_sub_f32_e32 v15, v26, v30
	v_sub_f32_e32 v26, v23, v27
	;; [unrolled: 1-line block ×3, first 2 shown]
	v_fmac_f32_e32 v7, -0.5, v14
	v_add_f32_e32 v34, v11, v35
	v_fmac_f32_e32 v28, 0x3f737871, v22
	v_sub_f32_e32 v11, v27, v23
	v_sub_f32_e32 v14, v31, v35
	v_add_f32_e32 v23, v0, v12
	v_fmac_f32_e32 v29, 0x3e9e377a, v10
	v_fmac_f32_e32 v6, 0x3e9e377a, v10
	;; [unrolled: 1-line block ×3, first 2 shown]
	v_add_f32_e32 v10, v26, v30
	v_fmamk_f32 v26, v15, 0x3f737871, v7
	v_fmac_f32_e32 v28, 0x3f167918, v15
	v_add_f32_e32 v11, v11, v14
	v_fmac_f32_e32 v7, 0xbf737871, v15
	v_add_f32_e32 v14, v23, v16
	v_add_f32_e32 v15, v16, v8
	v_fmac_f32_e32 v33, 0x3e9e377a, v10
	v_fmac_f32_e32 v26, 0xbf167918, v22
	;; [unrolled: 1-line block ×4, first 2 shown]
	v_add_f32_e32 v10, v14, v8
	v_fma_f32 v15, -0.5, v15, v0
	v_add_f32_e32 v14, v12, v56
	v_sub_f32_e32 v22, v13, v57
	v_fmac_f32_e32 v26, 0x3e9e377a, v11
	v_fmac_f32_e32 v7, 0x3e9e377a, v11
	v_add_f32_e32 v23, v10, v56
	v_sub_f32_e32 v10, v17, v9
	v_fma_f32 v0, -0.5, v14, v0
	v_fmamk_f32 v11, v22, 0x3f737871, v15
	v_sub_f32_e32 v14, v12, v16
	v_sub_f32_e32 v27, v56, v8
	v_fmac_f32_e32 v15, 0xbf737871, v22
	v_fmamk_f32 v30, v10, 0xbf737871, v0
	v_fmac_f32_e32 v11, 0x3f167918, v10
	v_sub_f32_e32 v31, v16, v12
	v_add_f32_e32 v14, v14, v27
	v_fmac_f32_e32 v15, 0xbf167918, v10
	v_sub_f32_e32 v35, v8, v56
	v_fmac_f32_e32 v0, 0x3f737871, v10
	v_add_f32_e32 v10, v17, v9
	v_fmac_f32_e32 v11, 0x3e9e377a, v14
	v_fmac_f32_e32 v15, 0x3e9e377a, v14
	v_add_f32_e32 v14, v13, v57
	v_fmac_f32_e32 v30, 0x3f167918, v22
	v_add_f32_e32 v27, v31, v35
	;; [unrolled: 2-line block ×3, first 2 shown]
	v_fma_f32 v31, -0.5, v10, v1
	v_sub_f32_e32 v8, v16, v8
	v_fmac_f32_e32 v1, -0.5, v14
	v_sub_f32_e32 v10, v12, v56
	v_add_f32_e32 v12, v22, v17
	v_sub_f32_e32 v14, v13, v17
	v_sub_f32_e32 v13, v17, v13
	v_fmamk_f32 v22, v8, 0x3f737871, v1
	v_sub_f32_e32 v17, v9, v57
	v_fmac_f32_e32 v1, 0xbf737871, v8
	v_mul_f32_e32 v51, 0xbf737871, v90
	v_fmac_f32_e32 v30, 0x3e9e377a, v27
	v_fmac_f32_e32 v0, 0x3e9e377a, v27
	v_fmamk_f32 v16, v10, 0xbf737871, v31
	v_sub_f32_e32 v27, v57, v9
	v_add_f32_e32 v13, v13, v17
	v_fmac_f32_e32 v31, 0x3f737871, v10
	v_fmac_f32_e32 v1, 0x3f167918, v10
	;; [unrolled: 1-line block ×4, first 2 shown]
	v_add_f32_e32 v14, v14, v27
	v_add_f32_e32 v9, v12, v9
	v_fmac_f32_e32 v31, 0x3f167918, v8
	v_fmac_f32_e32 v1, 0x3e9e377a, v13
	v_mul_f32_e32 v8, 0x3e9e377a, v0
	v_fmac_f32_e32 v22, 0xbf167918, v10
	v_add_f32_e32 v41, v88, v51
	v_sub_f32_e32 v75, v88, v51
	v_add_f32_e32 v35, v9, v57
	v_fmac_f32_e32 v31, 0x3e9e377a, v14
	v_fma_f32 v51, 0x3f737871, v1, -v8
	v_mul_f32_e32 v9, 0x3f4f1bbd, v15
	v_mul_f32_e32 v1, 0x3e9e377a, v1
	v_fmac_f32_e32 v22, 0x3e9e377a, v13
	v_fmac_f32_e32 v16, 0x3e9e377a, v14
	v_mul_f32_e32 v17, 0x3f4f1bbd, v11
	v_fma_f32 v53, 0x3f167918, v31, -v9
	v_mul_f32_e32 v9, 0x3f4f1bbd, v31
	v_fma_f32 v0, 0xbf737871, v0, -v1
	v_mul_f32_e32 v27, 0x3f737871, v22
	v_mul_f32_e32 v55, 0xbf167918, v11
	v_add_f32_e32 v14, v6, v51
	v_fma_f32 v1, 0xbf167918, v15, -v9
	v_add_f32_e32 v15, v7, v0
	v_sub_f32_e32 v57, v7, v0
	v_mul_u32_u24_e32 v0, 10, v130
	v_fmac_f32_e32 v27, 0x3e9e377a, v30
	v_mul_f32_e32 v30, 0xbf737871, v30
	v_sub_f32_e32 v56, v6, v51
	v_mul_u32_u24_e32 v6, 10, v235
	v_fmac_f32_e32 v17, 0x3f167918, v16
	v_fmac_f32_e32 v55, 0x3f4f1bbd, v16
	v_add_lshl_u32 v245, v164, v0, 3
	v_mul_u32_u24_e32 v0, 10, v129
	v_fmac_f32_e32 v30, 0x3e9e377a, v22
	v_add_lshl_u32 v246, v164, v6, 3
	v_add_f32_e32 v8, v25, v23
	v_add_f32_e32 v10, v24, v17
	;; [unrolled: 1-line block ×4, first 2 shown]
	v_add_lshl_u32 v241, v164, v0, 3
	v_add_f32_e32 v12, v29, v27
	v_add_f32_e32 v48, v32, v53
	;; [unrolled: 1-line block ×4, first 2 shown]
	v_sub_f32_e32 v50, v25, v23
	v_sub_f32_e32 v52, v24, v17
	;; [unrolled: 1-line block ×8, first 2 shown]
	ds_write_b128 v246, v[18:21]
	ds_write_b128 v246, v[60:63] offset:16
	ds_write_b128 v246, v[2:5] offset:32
	ds_write_b128 v246, v[64:67] offset:48
	ds_write_b128 v246, v[68:71] offset:64
	ds_write_b128 v245, v[36:39]
	ds_write_b128 v245, v[40:43] offset:16
	ds_write_b128 v245, v[44:47] offset:32
	ds_write_b128 v245, v[72:75] offset:48
	ds_write_b128 v245, v[76:79] offset:64
	;; [unrolled: 5-line block ×3, first 2 shown]
	s_waitcnt lgkmcnt(0)
	s_barrier
	buffer_gl0_inv
	ds_read2_b64 v[76:79], v236 offset0:60 offset1:76
	ds_read2_b64 v[64:67], v236 offset0:92 offset1:120
	;; [unrolled: 1-line block ×9, first 2 shown]
	ds_read2_b64 v[96:99], v104 offset1:16
	ds_read2_b64 v[88:91], v104 offset0:120 offset1:136
	ds_read_b64 v[112:113], v232
	ds_read_b64 v[110:111], v236 offset:3616
	v_or_b32_e32 v108, 48, v235
                                        ; implicit-def: $vgpr106
	v_cmp_gt_u64_e32 vcc_lo, 60, v[108:109]
	s_and_saveexec_b32 s0, vcc_lo
	s_cbranch_execz .LBB0_3
; %bb.2:
	ds_read2_b64 v[48:51], v236 offset0:48 offset1:108
	ds_read2_b64 v[52:55], v236 offset0:168 offset1:228
	;; [unrolled: 1-line block ×4, first 2 shown]
.LBB0_3:
	s_or_b32 exec_lo, exec_lo, s0
	v_add_nc_u32_e32 v0, -10, v235
	v_cmp_gt_u32_e64 s0, 10, v235
	v_mul_lo_u16 v2, v130, 26
	v_mul_lo_u16 v3, v108, 26
	v_cndmask_b32_e64 v131, v0, v235, s0
	v_lshrrev_b16 v132, 8, v2
	v_lshrrev_b16 v3, 8, v3
	v_mul_i32_i24_e32 v0, 56, v131
	v_mul_hi_i32_i24_e32 v1, 56, v131
	v_mul_lo_u16 v4, v3, 10
	v_add_co_u32 v0, s0, s14, v0
	v_add_co_ci_u32_e64 v1, s0, s15, v1, s0
	v_sub_nc_u16 v4, v108, v4
	v_cmp_lt_u32_e64 s0, 9, v235
	s_clause 0x3
	global_load_dwordx4 v[12:15], v[0:1], off
	global_load_dwordx4 v[24:27], v[0:1], off offset:16
	global_load_dwordx4 v[16:19], v[0:1], off offset:32
	global_load_dwordx2 v[217:218], v[0:1], off offset:48
	v_mul_lo_u16 v1, v129, 26
	v_mul_lo_u16 v0, v132, 10
	buffer_store_dword v3, off, s[20:23], 0 offset:48 ; 4-byte Folded Spill
	v_lshrrev_b16 v133, 8, v1
	v_sub_nc_u16 v130, v130, v0
	v_mul_lo_u16 v2, v133, 10
	v_and_b32_e32 v0, 0xff, v130
	v_sub_nc_u16 v2, v129, v2
	v_mad_u64_u32 v[0:1], null, v0, 56, s[14:15]
	v_and_b32_e32 v129, 0xff, v2
	s_clause 0x1
	global_load_dwordx4 v[44:47], v[0:1], off
	global_load_dwordx4 v[40:43], v[0:1], off offset:16
	v_mad_u64_u32 v[2:3], null, v129, 56, s[14:15]
	s_clause 0x2
	global_load_dwordx4 v[36:39], v[0:1], off offset:32
	global_load_dwordx2 v[219:220], v[0:1], off offset:48
	global_load_dwordx4 v[32:35], v[2:3], off
	v_and_b32_e32 v0, 0xff, v4
	global_load_dwordx4 v[28:31], v[2:3], off offset:16
	v_mad_u64_u32 v[108:109], null, v0, 56, s[14:15]
	buffer_store_dword v0, off, s[20:23], 0 offset:52 ; 4-byte Folded Spill
	s_clause 0x5
	global_load_dwordx4 v[20:23], v[2:3], off offset:32
	global_load_dwordx2 v[215:216], v[2:3], off offset:48
	global_load_dwordx4 v[4:7], v[108:109], off
	global_load_dwordx4 v[0:3], v[108:109], off offset:16
	global_load_dwordx4 v[8:11], v[108:109], off offset:32
	global_load_dwordx2 v[213:214], v[108:109], off offset:48
	v_mul_lo_u16 v109, 0x50, v132
	v_mov_b32_e32 v108, 0x50
	v_cndmask_b32_e64 v132, 0, 0x50, s0
	s_waitcnt vmcnt(0) lgkmcnt(0)
	s_waitcnt_vscnt null, 0x0
	s_barrier
	v_or_b32_e32 v109, v109, v130
	v_mul_u32_u24_sdwa v130, v133, v108 dst_sel:DWORD dst_unused:UNUSED_PAD src0_sel:WORD_0 src1_sel:DWORD
	v_or_b32_e32 v131, v131, v132
	buffer_gl0_inv
	v_and_b32_e32 v109, 0xff, v109
	v_or_b32_e32 v129, v130, v129
	v_add_lshl_u32 v231, v164, v131, 3
	v_add_lshl_u32 v230, v164, v109, 3
	;; [unrolled: 1-line block ×3, first 2 shown]
	v_mul_f32_e32 v109, v77, v13
	v_mul_f32_e32 v129, v76, v13
	;; [unrolled: 1-line block ×14, first 2 shown]
	v_fma_f32 v76, v76, v12, -v109
	v_fmac_f32_e32 v129, v77, v12
	v_fma_f32 v66, v66, v14, -v130
	v_fmac_f32_e32 v131, v67, v14
	;; [unrolled: 2-line block ×7, first 2 shown]
	v_sub_f32_e32 v70, v112, v70
	v_sub_f32_e32 v77, v113, v135
	;; [unrolled: 1-line block ×8, first 2 shown]
	v_mul_f32_e32 v85, v79, v45
	v_mul_f32_e32 v92, v78, v45
	;; [unrolled: 1-line block ×40, first 2 shown]
	v_fma_f32 v112, v112, 2.0, -v70
	v_fma_f32 v113, v113, 2.0, -v77
	;; [unrolled: 1-line block ×8, first 2 shown]
	v_sub_f32_e32 v80, v70, v80
	v_add_f32_e32 v229, v77, v74
	v_sub_f32_e32 v74, v71, v84
	v_add_f32_e32 v75, v81, v75
	v_fma_f32 v78, v78, v44, -v85
	v_fmac_f32_e32 v92, v79, v44
	v_fma_f32 v79, v100, v46, -v93
	v_fmac_f32_e32 v109, v101, v46
	;; [unrolled: 2-line block ×7, first 2 shown]
	v_mul_f32_e32 v158, v50, v5
	v_mul_f32_e32 v228, v106, v214
	v_fma_f32 v64, v64, v32, -v142
	v_fmac_f32_e32 v143, v65, v32
	v_fma_f32 v65, v102, v34, -v144
	v_fmac_f32_e32 v145, v103, v34
	;; [unrolled: 2-line block ×7, first 2 shown]
	v_fma_f32 v88, v50, v4, -v157
	v_fma_f32 v89, v52, v6, -v159
	v_fmac_f32_e32 v160, v53, v6
	v_fma_f32 v90, v54, v0, -v161
	v_fmac_f32_e32 v162, v55, v0
	;; [unrolled: 2-line block ×5, first 2 shown]
	v_fma_f32 v58, v106, v213, -v227
	v_sub_f32_e32 v66, v112, v66
	v_sub_f32_e32 v91, v113, v131
	v_fma_f32 v93, v70, 2.0, -v80
	v_fma_f32 v94, v77, 2.0, -v229
	v_sub_f32_e32 v59, v76, v67
	v_sub_f32_e32 v67, v129, v133
	v_fma_f32 v77, v71, 2.0, -v74
	v_fma_f32 v81, v81, 2.0, -v75
	v_fmamk_f32 v52, v74, 0x3f3504f3, v80
	v_fmamk_f32 v53, v75, 0x3f3504f3, v229
	v_sub_f32_e32 v83, v60, v83
	v_sub_f32_e32 v95, v61, v135
	;; [unrolled: 1-line block ×8, first 2 shown]
	v_fmac_f32_e32 v158, v51, v4
	v_fmac_f32_e32 v228, v107, v213
	v_sub_f32_e32 v97, v62, v68
	v_sub_f32_e32 v98, v63, v149
	;; [unrolled: 1-line block ×14, first 2 shown]
	v_fma_f32 v107, v112, 2.0, -v66
	v_fma_f32 v110, v113, 2.0, -v91
	;; [unrolled: 1-line block ×4, first 2 shown]
	v_fmamk_f32 v68, v77, 0xbf3504f3, v93
	v_fmamk_f32 v69, v81, 0xbf3504f3, v94
	v_sub_f32_e32 v54, v66, v67
	v_add_f32_e32 v55, v91, v59
	v_fmac_f32_e32 v52, 0xbf3504f3, v75
	v_fmac_f32_e32 v53, 0x3f3504f3, v74
	v_fma_f32 v112, v60, 2.0, -v83
	v_fma_f32 v113, v61, 2.0, -v95
	;; [unrolled: 1-line block ×8, first 2 shown]
	v_sub_f32_e32 v129, v83, v71
	v_add_f32_e32 v130, v95, v70
	v_sub_f32_e32 v96, v84, v96
	v_add_f32_e32 v86, v85, v86
	v_sub_f32_e32 v57, v158, v224
	v_sub_f32_e32 v106, v162, v228
	v_fma_f32 v131, v62, 2.0, -v97
	v_fma_f32 v132, v63, 2.0, -v98
	;; [unrolled: 1-line block ×8, first 2 shown]
	v_sub_f32_e32 v99, v97, v99
	v_add_f32_e32 v136, v98, v72
	v_sub_f32_e32 v102, v100, v102
	v_add_f32_e32 v137, v101, v73
	v_fma_f32 v48, v48, 2.0, -v50
	v_fma_f32 v58, v49, 2.0, -v51
	;; [unrolled: 1-line block ×6, first 2 shown]
	v_sub_f32_e32 v60, v50, v104
	v_add_f32_e32 v61, v51, v103
	v_sub_f32_e32 v70, v107, v76
	v_sub_f32_e32 v71, v110, v111
	v_fmac_f32_e32 v68, 0xbf3504f3, v81
	v_fmac_f32_e32 v69, 0x3f3504f3, v77
	v_fma_f32 v72, v66, 2.0, -v54
	v_fma_f32 v73, v91, 2.0, -v55
	;; [unrolled: 1-line block ×4, first 2 shown]
	ds_write2_b64 v231, v[54:55], v[52:53] offset0:60 offset1:70
	v_sub_f32_e32 v91, v112, v67
	v_sub_f32_e32 v103, v113, v79
	v_fma_f32 v104, v83, 2.0, -v129
	v_fma_f32 v95, v95, 2.0, -v130
	v_sub_f32_e32 v52, v109, v78
	v_sub_f32_e32 v53, v92, v82
	v_fma_f32 v84, v84, 2.0, -v96
	v_fma_f32 v85, v85, 2.0, -v86
	;; [unrolled: 1-line block ×4, first 2 shown]
	v_sub_f32_e32 v63, v56, v106
	v_add_f32_e32 v64, v57, v105
	v_fmamk_f32 v76, v96, 0x3f3504f3, v129
	v_fmamk_f32 v77, v86, 0x3f3504f3, v130
	v_sub_f32_e32 v105, v131, v62
	v_sub_f32_e32 v106, v132, v65
	v_fma_f32 v111, v97, 2.0, -v99
	v_fma_f32 v139, v98, 2.0, -v136
	v_sub_f32_e32 v87, v133, v87
	v_sub_f32_e32 v97, v134, v135
	v_fma_f32 v98, v100, 2.0, -v102
	v_fma_f32 v100, v101, 2.0, -v137
	;; [unrolled: 4-line block ×3, first 2 shown]
	v_fma_f32 v82, v93, 2.0, -v68
	v_fma_f32 v83, v94, 2.0, -v69
	ds_write2_b64 v231, v[72:73], v[74:75] offset0:20 offset1:30
	ds_write2_b64 v231, v[70:71], v[68:69] offset0:40 offset1:50
	v_fma_f32 v93, v112, 2.0, -v91
	v_fma_f32 v94, v113, 2.0, -v103
	;; [unrolled: 1-line block ×4, first 2 shown]
	v_fmamk_f32 v68, v84, 0xbf3504f3, v104
	v_fmamk_f32 v69, v85, 0xbf3504f3, v95
	;; [unrolled: 1-line block ×3, first 2 shown]
	v_sub_f32_e32 v67, v59, v90
	v_fmac_f32_e32 v76, 0xbf3504f3, v86
	v_fmac_f32_e32 v77, 0x3f3504f3, v96
	v_fma_f32 v96, v131, 2.0, -v105
	v_fma_f32 v101, v132, 2.0, -v106
	;; [unrolled: 1-line block ×4, first 2 shown]
	v_fmamk_f32 v72, v98, 0xbf3504f3, v111
	v_fmamk_f32 v73, v100, 0xbf3504f3, v139
	;; [unrolled: 1-line block ×3, first 2 shown]
	v_sub_f32_e32 v66, v58, v138
	v_fmamk_f32 v54, v63, 0x3f3504f3, v60
	v_fmamk_f32 v55, v64, 0x3f3504f3, v61
	ds_write2_b64 v231, v[80:81], v[82:83] offset1:10
	v_sub_f32_e32 v80, v93, v88
	v_sub_f32_e32 v81, v94, v89
	v_fmac_f32_e32 v68, 0xbf3504f3, v85
	v_fmac_f32_e32 v69, 0x3f3504f3, v84
	v_sub_f32_e32 v70, v91, v53
	v_add_f32_e32 v71, v103, v52
	v_add_f32_e32 v75, v106, v87
	v_fmac_f32_e32 v78, 0xbf3504f3, v137
	v_sub_f32_e32 v86, v96, v86
	v_sub_f32_e32 v87, v101, v90
	v_fmac_f32_e32 v72, 0xbf3504f3, v100
	v_fmac_f32_e32 v73, 0x3f3504f3, v98
	v_sub_f32_e32 v74, v105, v97
	v_fmac_f32_e32 v79, 0x3f3504f3, v102
	v_sub_f32_e32 v52, v62, v67
	v_add_f32_e32 v53, v66, v65
	v_fmac_f32_e32 v54, 0xbf3504f3, v64
	v_fmac_f32_e32 v55, 0x3f3504f3, v63
	v_fma_f32 v92, v93, 2.0, -v80
	v_fma_f32 v93, v94, 2.0, -v81
	;; [unrolled: 1-line block ×16, first 2 shown]
	buffer_store_dword v231, off, s[20:23], 0 offset:64 ; 4-byte Folded Spill
	ds_write2_b64 v230, v[70:71], v[76:77] offset0:60 offset1:70
	ds_write2_b64 v230, v[82:83], v[84:85] offset0:20 offset1:30
	;; [unrolled: 1-line block ×3, first 2 shown]
	buffer_store_dword v230, off, s[20:23], 0 offset:60 ; 4-byte Folded Spill
	ds_write2_b64 v230, v[92:93], v[94:95] offset1:10
	ds_write2_b64 v163, v[96:97], v[98:99] offset1:10
	ds_write2_b64 v163, v[88:89], v[90:91] offset0:20 offset1:30
	ds_write2_b64 v163, v[86:87], v[72:73] offset0:40 offset1:50
	buffer_store_dword v163, off, s[20:23], 0 offset:56 ; 4-byte Folded Spill
	ds_write2_b64 v163, v[74:75], v[78:79] offset0:60 offset1:70
	s_and_saveexec_b32 s0, vcc_lo
	s_cbranch_execz .LBB0_5
; %bb.4:
	v_fma_f32 v68, v51, 2.0, -v61
	v_fma_f32 v64, v57, 2.0, -v64
	;; [unrolled: 1-line block ×6, first 2 shown]
	v_fmamk_f32 v61, v64, 0xbf3504f3, v68
	v_fma_f32 v66, v58, 2.0, -v66
	v_fma_f32 v58, v59, 2.0, -v67
	;; [unrolled: 1-line block ×4, first 2 shown]
	buffer_load_dword v49, off, s[20:23], 0 offset:48 ; 4-byte Folded Reload
	v_fma_f32 v50, v60, 2.0, -v54
	v_fmamk_f32 v60, v56, 0xbf3504f3, v63
	v_fmac_f32_e32 v61, 0x3f3504f3, v56
	buffer_load_dword v56, off, s[20:23], 0 offset:52 ; 4-byte Folded Reload
	v_sub_f32_e32 v48, v67, v48
	v_fmac_f32_e32 v60, 0xbf3504f3, v64
	s_waitcnt vmcnt(1)
	v_mul_u32_u24_sdwa v59, v49, v108 dst_sel:DWORD dst_unused:UNUSED_PAD src0_sel:WORD_0 src1_sel:DWORD
	v_sub_f32_e32 v49, v66, v58
	v_fma_f32 v58, v63, 2.0, -v60
	v_fma_f32 v63, v67, 2.0, -v48
	s_waitcnt vmcnt(0)
	v_or_b32_e32 v56, v59, v56
	v_fma_f32 v59, v68, 2.0, -v61
	v_fma_f32 v64, v66, 2.0, -v49
	v_add_lshl_u32 v65, v164, v56, 3
	v_fma_f32 v56, v62, 2.0, -v52
	ds_write2_b64 v65, v[63:64], v[58:59] offset1:10
	ds_write2_b64 v65, v[56:57], v[50:51] offset0:20 offset1:30
	ds_write2_b64 v65, v[48:49], v[60:61] offset0:40 offset1:50
	;; [unrolled: 1-line block ×3, first 2 shown]
.LBB0_5:
	s_or_b32 exec_lo, exec_lo, s0
	v_mad_u64_u32 v[92:93], null, v235, 40, s[14:15]
	s_waitcnt lgkmcnt(0)
	s_waitcnt_vscnt null, 0x0
	s_barrier
	buffer_gl0_inv
	v_add_nc_u32_e32 v108, 0x400, v236
	v_add_nc_u32_e32 v247, 0x800, v236
	v_mov_b32_e32 v163, v232
	s_clause 0x7
	global_load_dwordx4 v[60:63], v[92:93], off offset:560
	global_load_dwordx4 v[56:59], v[92:93], off offset:1200
	;; [unrolled: 1-line block ×4, first 2 shown]
	global_load_dwordx2 v[223:224], v[92:93], off offset:592
	global_load_dwordx2 v[221:222], v[92:93], off offset:1232
	global_load_dwordx4 v[72:75], v[92:93], off offset:1840
	global_load_dwordx4 v[68:71], v[92:93], off offset:1856
	ds_read2_b64 v[76:79], v236 offset0:80 offset1:96
	ds_read2_b64 v[80:83], v108 offset0:112 offset1:128
	;; [unrolled: 1-line block ×4, first 2 shown]
	s_waitcnt vmcnt(7) lgkmcnt(3)
	v_mul_f32_e32 v94, v77, v61
	v_mul_f32_e32 v97, v76, v61
	s_waitcnt vmcnt(6)
	v_mul_f32_e32 v95, v79, v57
	v_mul_f32_e32 v96, v78, v57
	s_waitcnt vmcnt(4) lgkmcnt(2)
	v_mul_f32_e32 v101, v83, v49
	v_fma_f32 v99, v76, v60, -v94
	v_fmac_f32_e32 v97, v77, v60
	v_fma_f32 v98, v78, v56, -v95
	v_fmac_f32_e32 v96, v79, v56
	s_waitcnt vmcnt(3) lgkmcnt(1)
	v_mul_f32_e32 v76, v85, v224
	s_waitcnt vmcnt(2)
	v_mul_f32_e32 v77, v87, v222
	s_waitcnt lgkmcnt(0)
	v_mul_f32_e32 v78, v89, v59
	s_waitcnt vmcnt(1)
	v_mul_f32_e32 v79, v91, v75
	v_mul_f32_e32 v100, v81, v65
	v_fma_f32 v139, v84, v223, -v76
	v_fma_f32 v136, v86, v221, -v77
	;; [unrolled: 1-line block ×4, first 2 shown]
	ds_read2_b64 v[76:79], v247 offset0:80 offset1:96
	v_mul_f32_e32 v113, v80, v65
	v_mul_f32_e32 v112, v82, v49
	v_fma_f32 v129, v82, v48, -v101
	v_add_co_u32 v82, s0, 0x280, v92
	v_mul_f32_e32 v135, v84, v224
	v_fma_f32 v134, v80, v64, -v100
	v_fmac_f32_e32 v113, v81, v64
	v_mul_f32_e32 v132, v86, v222
	v_fmac_f32_e32 v112, v83, v48
	v_add_co_ci_u32_e64 v83, s0, 0, v93, s0
	v_fmac_f32_e32 v135, v85, v223
	v_fmac_f32_e32 v132, v87, v221
	v_mul_f32_e32 v137, v88, v59
	v_mul_f32_e32 v101, v90, v75
	s_waitcnt lgkmcnt(0)
	v_mul_f32_e32 v80, v77, v51
	v_mul_f32_e32 v143, v76, v51
	s_waitcnt vmcnt(0)
	v_mul_f32_e32 v81, v79, v71
	v_mul_f32_e32 v110, v78, v71
	v_fmac_f32_e32 v137, v89, v58
	v_fma_f32 v142, v76, v50, -v80
	v_fmac_f32_e32 v143, v77, v50
	v_fma_f32 v107, v78, v70, -v81
	v_fmac_f32_e32 v110, v79, v70
	ds_read2_b64 v[76:79], v236 offset0:112 offset1:128
	s_clause 0x1
	global_load_dwordx2 v[227:228], v[92:93], off offset:1872
	global_load_dwordx4 v[84:87], v[82:83], off offset:1840
	v_fmac_f32_e32 v101, v91, v74
	s_waitcnt lgkmcnt(0)
	v_mul_f32_e32 v80, v77, v73
	v_mul_f32_e32 v102, v76, v73
	v_fma_f32 v100, v76, v72, -v80
	v_fmac_f32_e32 v102, v77, v72
	s_waitcnt vmcnt(0)
	v_mul_f32_e32 v76, v79, v85
	v_mul_f32_e32 v109, v78, v85
	v_fma_f32 v106, v78, v84, -v76
	v_fmac_f32_e32 v109, v79, v84
	ds_read2_b64 v[78:81], v247 offset0:16 offset1:32
	s_waitcnt lgkmcnt(0)
	v_mul_f32_e32 v76, v79, v69
	v_mul_f32_e32 v146, v78, v69
	v_fma_f32 v145, v78, v68, -v76
	v_fmac_f32_e32 v146, v79, v68
	s_clause 0x1
	global_load_dwordx2 v[225:226], v[82:83], off offset:1872
	global_load_dwordx4 v[76:79], v[82:83], off offset:1856
	s_waitcnt vmcnt(0)
	v_mul_f32_e32 v82, v81, v77
	v_mul_f32_e32 v130, v80, v77
	v_fma_f32 v133, v80, v76, -v82
	v_fmac_f32_e32 v130, v81, v76
	ds_read2_b64 v[80:83], v247 offset0:176 offset1:192
	s_waitcnt lgkmcnt(0)
	v_mul_f32_e32 v88, v81, v228
	v_mul_f32_e32 v149, v80, v228
	;; [unrolled: 1-line block ×3, first 2 shown]
	v_fma_f32 v148, v80, v227, -v88
	ds_read2_b64 v[88:91], v236 offset0:144 offset1:160
	v_mul_f32_e32 v80, v83, v226
	v_fmac_f32_e32 v149, v81, v227
	v_fmac_f32_e32 v138, v83, v225
	v_fma_f32 v141, v82, v225, -v80
	v_add_co_u32 v80, s0, 0x800, v92
	v_add_co_ci_u32_e64 v81, s0, 0, v93, s0
	s_waitcnt lgkmcnt(0)
	v_mul_f32_e32 v82, v91, v63
	v_mul_f32_e32 v151, v90, v63
	v_fma_f32 v150, v90, v62, -v82
	global_load_dwordx4 v[80:83], v[80:81], off offset:1072
	v_fmac_f32_e32 v151, v91, v62
	s_waitcnt vmcnt(0)
	v_mul_f32_e32 v90, v89, v81
	v_mul_f32_e32 v105, v88, v81
	v_fma_f32 v104, v88, v80, -v90
	v_fmac_f32_e32 v105, v89, v80
	ds_read2_b64 v[88:91], v236 offset0:208 offset1:224
	s_waitcnt lgkmcnt(0)
	v_mul_f32_e32 v94, v89, v87
	v_mul_f32_e32 v147, v88, v87
	;; [unrolled: 1-line block ×3, first 2 shown]
	v_fma_f32 v144, v88, v86, -v94
	v_mul_f32_e32 v88, v91, v83
	v_fmac_f32_e32 v147, v89, v86
	v_fmac_f32_e32 v131, v91, v82
	v_fma_f32 v111, v90, v82, -v88
	v_add_co_u32 v88, s0, 0xc30, v92
	v_add_co_ci_u32_e64 v89, s0, 0, v93, s0
	ds_read2_b64 v[92:95], v247 offset0:48 offset1:64
	s_add_u32 s0, s12, 0xf00
	s_addc_u32 s1, s13, 0
	s_waitcnt lgkmcnt(0)
	v_mul_f32_e32 v90, v95, v67
	v_fma_f32 v231, v94, v66, -v90
	s_clause 0x1
	global_load_dwordx2 v[229:230], v[88:89], off offset:32
	global_load_dwordx4 v[88:91], v[88:89], off offset:16
	ds_read2_b64 v[153:156], v247 offset0:112 offset1:128
	v_mul_f32_e32 v94, v94, v67
	v_fmac_f32_e32 v94, v95, v66
	s_waitcnt lgkmcnt(0)
	v_mul_f32_e32 v242, v153, v79
	v_fmac_f32_e32 v242, v154, v78
	s_waitcnt vmcnt(0)
	v_mul_f32_e32 v95, v93, v89
	v_mul_f32_e32 v239, v92, v89
	;; [unrolled: 1-line block ×3, first 2 shown]
	v_fma_f32 v234, v92, v88, -v95
	v_mul_f32_e32 v92, v154, v79
	v_fmac_f32_e32 v239, v93, v88
	v_add_f32_e32 v154, v99, v134
	v_fmac_f32_e32 v244, v156, v90
	v_fma_f32 v240, v153, v78, -v92
	v_mul_f32_e32 v92, v156, v91
	v_add_f32_e32 v154, v154, v139
	v_fma_f32 v243, v155, v90, -v92
	ds_read_b64 v[92:93], v232
	ds_read_b64 v[161:162], v236 offset:3712
	v_add_f32_e32 v155, v97, v113
	v_add_f32_e32 v155, v155, v135
	s_waitcnt lgkmcnt(1)
	v_add_f32_e32 v95, v92, v150
	v_add_f32_e32 v153, v93, v151
	;; [unrolled: 1-line block ×6, first 2 shown]
	v_sub_f32_e32 v237, v95, v154
	v_sub_f32_e32 v238, v153, v155
	ds_read2_b64 v[153:156], v236 offset0:16 offset1:32
	ds_read2_b64 v[157:160], v236 offset0:48 offset1:64
	ds_write_b64 v163, v[232:233]
	s_waitcnt lgkmcnt(2)
	v_add_f32_e32 v232, v154, v137
	v_add_f32_e32 v95, v153, v140
	;; [unrolled: 1-line block ×8, first 2 shown]
	v_sub_f32_e32 v232, v95, v249
	v_sub_f32_e32 v233, v248, v250
	ds_write2_b64 v108, v[237:238], v[232:233] offset0:112 offset1:128
	v_add_f32_e32 v237, v156, v101
	v_add_f32_e32 v233, v248, v250
	;; [unrolled: 1-line block ×12, first 2 shown]
	ds_write2_b64 v236, v[232:233], v[237:238] offset0:16 offset1:32
	s_waitcnt lgkmcnt(3)
	v_add_f32_e32 v237, v158, v147
	v_sub_f32_e32 v233, v248, v250
	v_sub_f32_e32 v232, v95, v249
	v_add_f32_e32 v95, v157, v144
	v_add_f32_e32 v248, v237, v242
	;; [unrolled: 1-line block ×7, first 2 shown]
	v_sub_f32_e32 v237, v95, v249
	v_sub_f32_e32 v238, v248, v250
	ds_write2_b64 v247, v[232:233], v[237:238] offset0:16 offset1:32
	v_mul_f32_e32 v232, v162, v230
	v_mul_f32_e32 v238, v161, v230
	v_fma_f32 v237, v161, v229, -v232
	v_add_f32_e32 v161, v95, v249
	v_add_f32_e32 v95, v159, v111
	v_fmac_f32_e32 v238, v162, v229
	v_add_f32_e32 v162, v248, v250
	v_add_f32_e32 v248, v95, v243
	;; [unrolled: 1-line block ×10, first 2 shown]
	v_sub_f32_e32 v150, v150, v231
	v_add_f32_e32 v233, v249, v251
	v_fma_f32 v92, -0.5, v95, v92
	ds_write2_b64 v236, v[161:162], v[232:233] offset0:48 offset1:64
	v_sub_f32_e32 v161, v151, v94
	v_add_f32_e32 v94, v151, v94
	v_sub_f32_e32 v151, v113, v135
	v_add_f32_e32 v113, v113, v135
	v_add_f32_e32 v135, v134, v139
	v_sub_f32_e32 v134, v134, v139
	v_sub_f32_e32 v139, v137, v143
	v_add_f32_e32 v137, v137, v143
	v_add_f32_e32 v143, v140, v142
	v_sub_f32_e32 v140, v140, v142
	v_sub_f32_e32 v142, v112, v132
	v_add_f32_e32 v112, v112, v132
	v_fmac_f32_e32 v97, -0.5, v113
	v_fmac_f32_e32 v99, -0.5, v135
	v_add_f32_e32 v132, v129, v136
	v_fmac_f32_e32 v93, -0.5, v94
	v_fmac_f32_e32 v96, -0.5, v112
	v_fmamk_f32 v94, v134, 0xbf5db3d7, v97
	v_fmamk_f32 v112, v151, 0x3f5db3d7, v99
	v_sub_f32_e32 v129, v129, v136
	v_fmac_f32_e32 v98, -0.5, v132
	v_fma_f32 v143, -0.5, v143, v153
	v_mul_f32_e32 v132, 0x3f5db3d7, v94
	v_mul_f32_e32 v135, 0xbf5db3d7, v112
	v_fma_f32 v137, -0.5, v137, v154
	v_fmamk_f32 v153, v161, 0x3f5db3d7, v92
	v_fmamk_f32 v154, v150, 0xbf5db3d7, v93
	v_fmac_f32_e32 v132, 0.5, v112
	v_fmac_f32_e32 v135, 0.5, v94
	v_fmamk_f32 v94, v129, 0xbf5db3d7, v96
	v_fmamk_f32 v112, v142, 0x3f5db3d7, v98
	;; [unrolled: 1-line block ×4, first 2 shown]
	v_add_f32_e32 v95, v154, v135
	v_mul_f32_e32 v136, 0x3f5db3d7, v94
	v_mul_f32_e32 v162, 0xbf5db3d7, v112
	v_fmac_f32_e32 v97, 0x3f5db3d7, v134
	v_fmac_f32_e32 v99, 0xbf5db3d7, v151
	;; [unrolled: 1-line block ×3, first 2 shown]
	v_fmac_f32_e32 v136, 0.5, v112
	v_fmac_f32_e32 v162, 0.5, v94
	v_add_f32_e32 v94, v153, v132
	v_fmac_f32_e32 v96, 0x3f5db3d7, v129
	v_fmac_f32_e32 v92, 0xbf5db3d7, v161
	v_add_f32_e32 v112, v231, v136
	v_add_f32_e32 v113, v232, v162
	v_fmac_f32_e32 v93, 0x3f5db3d7, v150
	v_mul_f32_e32 v129, -0.5, v96
	v_fmac_f32_e32 v143, 0xbf5db3d7, v139
	v_fmac_f32_e32 v137, 0x3f5db3d7, v140
	ds_write2_b64 v236, v[94:95], v[112:113] offset0:80 offset1:96
	v_mul_f32_e32 v113, -0.5, v97
	v_mul_f32_e32 v112, -0.5, v99
	v_fmac_f32_e32 v129, 0xbf5db3d7, v98
	v_fmac_f32_e32 v113, 0xbf5db3d7, v99
	v_mul_f32_e32 v99, -0.5, v98
	v_fmac_f32_e32 v112, 0x3f5db3d7, v97
	v_sub_f32_e32 v97, v137, v129
	v_add_f32_e32 v98, v103, v107
	v_sub_f32_e32 v95, v93, v113
	v_fmac_f32_e32 v99, 0x3f5db3d7, v96
	v_sub_f32_e32 v94, v92, v112
	v_add_f32_e32 v93, v93, v113
	v_fma_f32 v98, -0.5, v98, v155
	v_add_f32_e32 v92, v92, v112
	v_sub_f32_e32 v96, v143, v99
	ds_write2_b64 v247, v[94:95], v[96:97] offset0:144 offset1:160
	v_add_f32_e32 v94, v143, v99
	v_sub_f32_e32 v99, v103, v107
	v_add_f32_e32 v107, v145, v148
	v_sub_f32_e32 v96, v101, v110
	;; [unrolled: 2-line block ×3, first 2 shown]
	v_add_f32_e32 v103, v146, v149
	v_fmac_f32_e32 v100, -0.5, v107
	v_sub_f32_e32 v110, v145, v148
	v_fmac_f32_e32 v156, -0.5, v97
	v_add_f32_e32 v95, v137, v129
	v_fmac_f32_e32 v102, -0.5, v103
	v_fmamk_f32 v107, v101, 0x3f5db3d7, v100
	v_fmac_f32_e32 v100, 0xbf5db3d7, v101
	v_fmamk_f32 v101, v99, 0xbf5db3d7, v156
	v_fmac_f32_e32 v156, 0x3f5db3d7, v99
	v_fmamk_f32 v99, v110, 0xbf5db3d7, v102
	v_fmac_f32_e32 v102, 0x3f5db3d7, v110
	v_mul_f32_e32 v110, -0.5, v100
	v_fmamk_f32 v103, v96, 0x3f5db3d7, v98
	v_fmac_f32_e32 v98, 0xbf5db3d7, v96
	v_fmac_f32_e32 v110, 0x3f5db3d7, v102
	v_mul_f32_e32 v102, -0.5, v102
	v_add_f32_e32 v96, v98, v110
	v_fmac_f32_e32 v102, 0xbf5db3d7, v100
	v_mul_f32_e32 v100, 0x3f5db3d7, v99
	v_add_f32_e32 v97, v156, v102
	v_fmac_f32_e32 v100, 0.5, v107
	v_mul_f32_e32 v107, 0xbf5db3d7, v107
	ds_write2_b64 v236, v[94:95], v[96:97] offset0:176 offset1:192
	v_sub_f32_e32 v94, v231, v136
	v_fmac_f32_e32 v107, 0.5, v99
	v_sub_f32_e32 v95, v232, v162
	v_sub_f32_e32 v96, v103, v100
	v_sub_f32_e32 v99, v147, v242
	v_sub_f32_e32 v97, v101, v107
	ds_write2_b64 v247, v[94:95], v[96:97] offset0:80 offset1:96
	v_add_f32_e32 v95, v101, v107
	v_add_f32_e32 v101, v130, v138
	;; [unrolled: 1-line block ×4, first 2 shown]
	v_sub_f32_e32 v100, v133, v141
	v_sub_f32_e32 v107, v130, v138
	v_fmac_f32_e32 v109, -0.5, v101
	v_add_f32_e32 v96, v147, v242
	v_fmac_f32_e32 v106, -0.5, v97
	v_add_f32_e32 v101, v144, v240
	v_sub_f32_e32 v103, v144, v240
	v_fmamk_f32 v97, v100, 0xbf5db3d7, v109
	v_fma_f32 v133, -0.5, v96, v158
	v_fmamk_f32 v129, v107, 0x3f5db3d7, v106
	v_fma_f32 v101, -0.5, v101, v157
	v_fmac_f32_e32 v106, 0xbf5db3d7, v107
	v_mul_f32_e32 v130, 0x3f5db3d7, v97
	v_fmamk_f32 v136, v103, 0xbf5db3d7, v133
	v_fmac_f32_e32 v109, 0x3f5db3d7, v100
	v_fmamk_f32 v134, v99, 0x3f5db3d7, v101
	v_fmac_f32_e32 v101, 0xbf5db3d7, v99
	v_fmac_f32_e32 v130, 0.5, v129
	v_mul_f32_e32 v129, 0xbf5db3d7, v129
	v_mul_f32_e32 v99, -0.5, v109
	v_fmac_f32_e32 v133, 0x3f5db3d7, v103
	v_add_f32_e32 v100, v239, v238
	v_add_f32_e32 v96, v134, v130
	v_fmac_f32_e32 v129, 0.5, v97
	v_fmac_f32_e32 v99, 0xbf5db3d7, v106
	v_sub_f32_e32 v103, v239, v238
	v_fmac_f32_e32 v105, -0.5, v100
	v_add_f32_e32 v100, v111, v243
	v_add_f32_e32 v97, v136, v129
	v_fma_f32 v100, -0.5, v100, v159
	ds_write2_b64 v236, v[94:95], v[96:97] offset0:112 offset1:128
	v_sub_f32_e32 v94, v98, v110
	v_mul_f32_e32 v98, -0.5, v106
	v_sub_f32_e32 v95, v156, v102
	v_sub_f32_e32 v97, v133, v99
	;; [unrolled: 1-line block ×3, first 2 shown]
	v_fmac_f32_e32 v98, 0x3f5db3d7, v109
	v_sub_f32_e32 v96, v101, v98
	ds_write2_b64 v247, v[94:95], v[96:97] offset0:176 offset1:192
	v_add_f32_e32 v95, v234, v237
	v_add_f32_e32 v94, v131, v244
	v_sub_f32_e32 v97, v234, v237
	v_sub_f32_e32 v96, v131, v244
	v_fmac_f32_e32 v104, -0.5, v95
	v_fmac_f32_e32 v160, -0.5, v94
	v_fmamk_f32 v94, v97, 0xbf5db3d7, v105
	v_fmac_f32_e32 v105, 0x3f5db3d7, v97
	v_fmamk_f32 v109, v96, 0x3f5db3d7, v100
	v_fmamk_f32 v95, v103, 0x3f5db3d7, v104
	v_fmac_f32_e32 v104, 0xbf5db3d7, v103
	v_mul_f32_e32 v106, 0x3f5db3d7, v94
	v_fmamk_f32 v110, v102, 0xbf5db3d7, v160
	v_fmac_f32_e32 v100, 0xbf5db3d7, v96
	v_mul_f32_e32 v107, 0xbf5db3d7, v95
	v_mul_f32_e32 v96, -0.5, v104
	v_fmac_f32_e32 v106, 0.5, v95
	v_mul_f32_e32 v97, -0.5, v105
	v_fmac_f32_e32 v160, 0x3f5db3d7, v102
	v_fmac_f32_e32 v107, 0.5, v94
	v_fmac_f32_e32 v96, 0x3f5db3d7, v105
	v_add_f32_e32 v94, v109, v106
	v_fmac_f32_e32 v97, 0xbf5db3d7, v104
	v_add_f32_e32 v95, v110, v107
	ds_write2_b64 v236, v[94:95], v[92:93] offset0:144 offset1:160
	v_add_f32_e32 v92, v101, v98
	v_add_f32_e32 v93, v133, v99
	;; [unrolled: 1-line block ×4, first 2 shown]
	ds_write2_b64 v236, v[92:93], v[94:95] offset0:208 offset1:224
	v_sub_f32_e32 v92, v153, v132
	v_sub_f32_e32 v93, v154, v135
	;; [unrolled: 1-line block ×4, first 2 shown]
	ds_write2_b64 v247, v[94:95], v[92:93] offset0:48 offset1:64
	v_sub_f32_e32 v92, v134, v130
	v_sub_f32_e32 v93, v136, v129
	;; [unrolled: 1-line block ×4, first 2 shown]
	ds_write2_b64 v247, v[92:93], v[94:95] offset0:112 offset1:128
	v_sub_f32_e32 v93, v160, v97
	v_sub_f32_e32 v92, v100, v96
	ds_write_b64 v236, v[92:93] offset:3712
	s_waitcnt lgkmcnt(0)
	s_barrier
	buffer_gl0_inv
	global_load_dwordx2 v[92:93], v114, s[0:1]
	ds_read_b64 v[94:95], v163
	s_clause 0x1
	global_load_dwordx2 v[96:97], v114, s[0:1] offset:128
	global_load_dwordx2 v[98:99], v114, s[0:1] offset:256
	s_waitcnt vmcnt(2) lgkmcnt(0)
	v_mul_f32_e32 v100, v95, v93
	v_mul_f32_e32 v101, v94, v93
	v_fma_f32 v100, v94, v92, -v100
	v_fmac_f32_e32 v101, v95, v92
	ds_write_b64 v163, v[100:101]
	global_load_dwordx2 v[100:101], v114, s[0:1] offset:384
	ds_read2_b64 v[92:95], v236 offset0:48 offset1:64
	s_waitcnt vmcnt(0) lgkmcnt(0)
	v_mul_f32_e32 v102, v93, v101
	v_mul_f32_e32 v103, v92, v101
	v_fma_f32 v102, v92, v100, -v102
	v_fmac_f32_e32 v103, v93, v100
	s_clause 0x6
	global_load_dwordx2 v[92:93], v114, s[0:1] offset:512
	global_load_dwordx2 v[100:101], v114, s[0:1] offset:896
	;; [unrolled: 1-line block ×7, first 2 shown]
	s_waitcnt vmcnt(6)
	v_mul_f32_e32 v106, v95, v93
	v_mul_f32_e32 v107, v94, v93
	v_fma_f32 v106, v94, v92, -v106
	v_fmac_f32_e32 v107, v95, v92
	ds_read2_b64 v[92:95], v236 offset0:144 offset1:160
	s_waitcnt vmcnt(3) lgkmcnt(0)
	v_mul_f32_e32 v113, v93, v110
	v_mul_f32_e32 v134, v92, v110
	s_waitcnt vmcnt(2)
	v_mul_f32_e32 v110, v94, v112
	v_fma_f32 v133, v92, v109, -v113
	v_mul_f32_e32 v92, v95, v112
	v_fmac_f32_e32 v134, v93, v109
	v_fmac_f32_e32 v110, v95, v111
	v_fma_f32 v109, v94, v111, -v92
	s_clause 0x1
	global_load_dwordx2 v[111:112], v114, s[0:1] offset:1920
	global_load_dwordx2 v[135:136], v114, s[0:1] offset:1792
	ds_read2_b64 v[92:95], v108 offset0:112 offset1:128
	s_waitcnt vmcnt(1) lgkmcnt(0)
	v_mul_f32_e32 v113, v93, v112
	v_mul_f32_e32 v138, v92, v112
	v_fma_f32 v137, v92, v111, -v113
	v_fmac_f32_e32 v138, v93, v111
	s_clause 0x5
	global_load_dwordx2 v[92:93], v128, s[0:1]
	global_load_dwordx2 v[111:112], v127, s[0:1]
	;; [unrolled: 1-line block ×6, first 2 shown]
	s_waitcnt vmcnt(5)
	v_mul_f32_e32 v113, v95, v93
	v_mul_f32_e32 v140, v94, v93
	v_fma_f32 v139, v94, v92, -v113
	v_fmac_f32_e32 v140, v95, v92
	ds_read2_b64 v[92:95], v247 offset0:80 offset1:96
	s_waitcnt vmcnt(2) lgkmcnt(0)
	v_mul_f32_e32 v113, v93, v142
	v_mul_f32_e32 v146, v92, v142
	v_fma_f32 v145, v92, v141, -v113
	v_fmac_f32_e32 v146, v93, v141
	s_clause 0x1
	global_load_dwordx2 v[92:93], v123, s[0:1]
	global_load_dwordx2 v[141:142], v117, s[0:1]
	s_waitcnt vmcnt(1)
	v_mul_f32_e32 v113, v95, v93
	v_mul_f32_e32 v123, v94, v93
	v_fma_f32 v122, v94, v92, -v113
	v_fmac_f32_e32 v123, v95, v92
	ds_read2_b64 v[92:95], v247 offset0:176 offset1:192
	s_waitcnt vmcnt(0) lgkmcnt(0)
	v_mul_f32_e32 v113, v93, v142
	v_mul_f32_e32 v148, v92, v142
	v_fma_f32 v147, v92, v141, -v113
	v_fmac_f32_e32 v148, v93, v141
	s_clause 0x3
	global_load_dwordx2 v[92:93], v118, s[0:1]
	global_load_dwordx2 v[117:118], v119, s[0:1]
	;; [unrolled: 1-line block ×4, first 2 shown]
	s_waitcnt vmcnt(3)
	v_mul_f32_e32 v113, v95, v93
	v_mul_f32_e32 v150, v94, v93
	v_fma_f32 v149, v94, v92, -v113
	v_fmac_f32_e32 v150, v95, v92
	ds_read2_b64 v[92:95], v236 offset0:16 offset1:32
	s_waitcnt lgkmcnt(0)
	v_mul_f32_e32 v113, v93, v97
	v_mul_f32_e32 v154, v92, v97
	;; [unrolled: 1-line block ×3, first 2 shown]
	v_fma_f32 v153, v92, v96, -v113
	v_mul_f32_e32 v92, v95, v99
	v_fmac_f32_e32 v154, v93, v96
	v_fmac_f32_e32 v97, v95, v98
	v_fma_f32 v96, v94, v98, -v92
	global_load_dwordx2 v[98:99], v114, s[0:1] offset:768
	ds_read2_b64 v[92:95], v236 offset0:80 offset1:96
	s_waitcnt vmcnt(0) lgkmcnt(0)
	v_mul_f32_e32 v113, v95, v99
	v_mul_f32_e32 v156, v94, v99
	;; [unrolled: 1-line block ×3, first 2 shown]
	v_fma_f32 v155, v94, v98, -v113
	v_mul_f32_e32 v94, v93, v105
	v_fmac_f32_e32 v156, v95, v98
	v_fmac_f32_e32 v99, v93, v104
	v_fma_f32 v98, v92, v104, -v94
	ds_read2_b64 v[92:95], v236 offset0:112 offset1:128
	s_waitcnt lgkmcnt(0)
	v_mul_f32_e32 v104, v93, v101
	v_mul_f32_e32 v105, v92, v101
	;; [unrolled: 1-line block ×3, first 2 shown]
	v_fma_f32 v104, v92, v100, -v104
	v_mul_f32_e32 v92, v95, v132
	v_fmac_f32_e32 v105, v93, v100
	v_fmac_f32_e32 v101, v95, v131
	v_fma_f32 v100, v94, v131, -v92
	s_clause 0x1
	global_load_dwordx2 v[131:132], v114, s[0:1] offset:1536
	global_load_dwordx2 v[113:114], v114, s[0:1] offset:1664
	ds_read2_b64 v[92:95], v236 offset0:176 offset1:192
	s_waitcnt vmcnt(1) lgkmcnt(0)
	v_mul_f32_e32 v121, v95, v132
	v_mul_f32_e32 v158, v94, v132
	;; [unrolled: 1-line block ×3, first 2 shown]
	v_fma_f32 v157, v94, v131, -v121
	v_mul_f32_e32 v94, v93, v130
	v_fmac_f32_e32 v158, v95, v131
	v_fmac_f32_e32 v132, v93, v129
	v_fma_f32 v131, v92, v129, -v94
	ds_read2_b64 v[92:95], v236 offset0:208 offset1:224
	s_waitcnt vmcnt(0) lgkmcnt(0)
	v_mul_f32_e32 v121, v93, v114
	v_mul_f32_e32 v129, v92, v114
	v_mul_f32_e32 v114, v94, v136
	v_fma_f32 v128, v92, v113, -v121
	v_mul_f32_e32 v92, v95, v136
	v_fmac_f32_e32 v129, v93, v113
	v_fmac_f32_e32 v114, v95, v135
	v_fma_f32 v113, v94, v135, -v92
	ds_read2_b64 v[92:95], v247 offset0:16 offset1:32
	s_waitcnt lgkmcnt(0)
	v_mul_f32_e32 v121, v95, v144
	v_mul_f32_e32 v136, v94, v144
	v_mul_f32_e32 v144, v92, v118
	v_fma_f32 v135, v94, v143, -v121
	v_mul_f32_e32 v94, v93, v118
	v_fmac_f32_e32 v136, v95, v143
	v_fmac_f32_e32 v144, v93, v117
	v_fma_f32 v143, v92, v117, -v94
	ds_read2_b64 v[92:95], v247 offset0:48 offset1:64
	s_waitcnt lgkmcnt(0)
	;; [unrolled: 10-line block ×4, first 2 shown]
	v_mul_f32_e32 v121, v93, v112
	v_mul_f32_e32 v142, v92, v112
	v_fma_f32 v141, v92, v111, -v121
	v_fmac_f32_e32 v142, v93, v111
	s_clause 0x1
	global_load_dwordx2 v[92:93], v115, s[0:1]
	global_load_dwordx2 v[111:112], v116, s[0:1]
	s_waitcnt vmcnt(1)
	v_mul_f32_e32 v115, v95, v93
	v_mul_f32_e32 v116, v94, v93
	v_fma_f32 v115, v94, v92, -v115
	v_fmac_f32_e32 v116, v95, v92
	ds_read_b64 v[92:93], v236 offset:3712
	s_waitcnt vmcnt(0) lgkmcnt(0)
	v_mul_f32_e32 v94, v93, v112
	v_mul_f32_e32 v95, v92, v112
	v_fma_f32 v94, v92, v111, -v94
	v_fmac_f32_e32 v95, v93, v111
	ds_write2_b64 v236, v[102:103], v[106:107] offset0:48 offset1:64
	ds_write2_b64 v236, v[133:134], v[109:110] offset0:144 offset1:160
	ds_write2_b64 v108, v[137:138], v[139:140] offset0:112 offset1:128
	ds_write2_b64 v247, v[145:146], v[122:123] offset0:80 offset1:96
	ds_write2_b64 v247, v[147:148], v[149:150] offset0:176 offset1:192
	ds_write2_b64 v236, v[153:154], v[96:97] offset0:16 offset1:32
	ds_write2_b64 v236, v[98:99], v[155:156] offset0:80 offset1:96
	ds_write2_b64 v236, v[104:105], v[100:101] offset0:112 offset1:128
	ds_write2_b64 v236, v[131:132], v[157:158] offset0:176 offset1:192
	ds_write2_b64 v236, v[128:129], v[113:114] offset0:208 offset1:224
	ds_write2_b64 v247, v[143:144], v[135:136] offset0:16 offset1:32
	ds_write2_b64 v247, v[117:118], v[126:127] offset0:48 offset1:64
	ds_write2_b64 v247, v[124:125], v[119:120] offset0:112 offset1:128
	ds_write2_b64 v247, v[141:142], v[115:116] offset0:144 offset1:160
	ds_write_b64 v236, v[94:95] offset:3712
	s_waitcnt lgkmcnt(0)
	s_barrier
	buffer_gl0_inv
	ds_read2_b64 v[92:95], v236 offset0:80 offset1:96
	ds_read2_b64 v[96:99], v236 offset0:176 offset1:192
	;; [unrolled: 1-line block ×9, first 2 shown]
	ds_read_b64 v[233:234], v163
	ds_read_b64 v[231:232], v236 offset:3712
	s_waitcnt lgkmcnt(9)
	v_sub_f32_e32 v109, v94, v98
	s_waitcnt lgkmcnt(8)
	v_sub_f32_e32 v156, v98, v106
	;; [unrolled: 2-line block ×5, first 2 shown]
	v_sub_f32_e32 v255, v128, v116
	v_sub_f32_e32 v239, v125, v121
	v_add_f32_e32 v248, v109, v110
	v_sub_f32_e32 v109, v95, v99
	v_sub_f32_e32 v110, v103, v107
	;; [unrolled: 1-line block ×5, first 2 shown]
	v_add_f32_e32 v132, v99, v107
	v_add_f32_e32 v249, v109, v110
	v_sub_f32_e32 v109, v116, v120
	v_sub_f32_e32 v155, v95, v103
	s_waitcnt lgkmcnt(2)
	v_add_f32_e32 v110, v112, v128
	s_waitcnt lgkmcnt(1)
	v_fma_f32 v243, -0.5, v132, v234
	v_add_f32_e32 v111, v113, v129
	v_add_f32_e32 v250, v108, v109
	v_sub_f32_e32 v108, v129, v125
	v_sub_f32_e32 v109, v117, v121
	v_add_f32_e32 v110, v110, v124
	v_add_f32_e32 v111, v111, v125
	v_fmamk_f32 v153, v158, 0x3f737871, v243
	v_fmac_f32_e32 v243, 0xbf737871, v158
	v_add_f32_e32 v252, v108, v109
	v_add_f32_e32 v108, v124, v120
	;; [unrolled: 1-line block ×4, first 2 shown]
	v_fmac_f32_e32 v153, 0x3f167918, v156
	v_fmac_f32_e32 v243, 0xbf167918, v156
	v_fma_f32 v251, -0.5, v108, v112
	v_add_f32_e32 v108, v125, v121
	v_add_f32_e32 v160, v110, v116
	;; [unrolled: 1-line block ×3, first 2 shown]
	v_fmac_f32_e32 v153, 0x3e9e377a, v249
	v_fmamk_f32 v109, v240, 0xbf737871, v251
	v_fma_f32 v253, -0.5, v108, v113
	v_fmac_f32_e32 v251, 0x3f737871, v240
	v_fmac_f32_e32 v243, 0x3e9e377a, v249
	;; [unrolled: 1-line block ×3, first 2 shown]
	v_fmamk_f32 v108, v255, 0x3f737871, v253
	v_fmac_f32_e32 v253, 0xbf737871, v255
	v_fmac_f32_e32 v251, 0x3f167918, v239
	;; [unrolled: 1-line block ×6, first 2 shown]
	v_mul_f32_e32 v237, 0x3f167918, v109
	v_fmac_f32_e32 v108, 0x3e9e377a, v252
	v_fmac_f32_e32 v253, 0x3e9e377a, v252
	v_mul_f32_e32 v238, 0xbf167918, v108
	v_fmac_f32_e32 v237, 0x3f4f1bbd, v108
	v_add_f32_e32 v108, v233, v94
	v_fmac_f32_e32 v238, 0x3f4f1bbd, v109
	v_add_f32_e32 v109, v98, v106
	v_add_f32_e32 v108, v108, v98
	v_sub_f32_e32 v98, v98, v94
	v_add_f32_e32 v94, v94, v102
	v_add_f32_e32 v151, v153, v237
	v_fma_f32 v242, -0.5, v109, v233
	v_add_f32_e32 v108, v108, v106
	v_sub_f32_e32 v106, v106, v102
	v_fma_f32 v94, -0.5, v94, v233
	v_add_f32_e32 v109, v234, v95
	v_fmamk_f32 v244, v155, 0xbf737871, v242
	v_add_f32_e32 v157, v108, v102
	v_add_f32_e32 v98, v98, v106
	;; [unrolled: 1-line block ×3, first 2 shown]
	v_fmamk_f32 v102, v154, 0x3f737871, v94
	v_fmac_f32_e32 v94, 0xbf737871, v154
	v_add_f32_e32 v109, v109, v99
	v_sub_f32_e32 v95, v99, v95
	v_fmac_f32_e32 v234, -0.5, v106
	v_fmac_f32_e32 v102, 0xbf167918, v155
	v_fmac_f32_e32 v94, 0x3f167918, v155
	v_sub_f32_e32 v99, v107, v103
	v_add_f32_e32 v109, v109, v107
	v_sub_f32_e32 v106, v121, v117
	v_fmac_f32_e32 v102, 0x3e9e377a, v98
	v_fmac_f32_e32 v94, 0x3e9e377a, v98
	v_fmamk_f32 v98, v156, 0xbf737871, v234
	v_fmac_f32_e32 v234, 0x3f737871, v156
	v_add_f32_e32 v95, v95, v99
	v_add_f32_e32 v159, v109, v103
	v_sub_f32_e32 v99, v124, v128
	v_fmac_f32_e32 v98, 0x3f167918, v158
	v_fmac_f32_e32 v234, 0xbf167918, v158
	v_sub_f32_e32 v103, v120, v116
	v_fmac_f32_e32 v244, 0xbf167918, v154
	v_fmac_f32_e32 v242, 0x3f737871, v155
	;; [unrolled: 1-line block ×4, first 2 shown]
	v_add_f32_e32 v95, v128, v116
	v_add_f32_e32 v99, v99, v103
	v_sub_f32_e32 v103, v125, v129
	v_fmac_f32_e32 v244, 0x3e9e377a, v248
	v_add_f32_e32 v148, v157, v160
	v_fma_f32 v95, -0.5, v95, v112
	v_add_f32_e32 v149, v159, v161
	v_add_f32_e32 v103, v103, v106
	;; [unrolled: 1-line block ×3, first 2 shown]
	v_fmac_f32_e32 v242, 0x3f167918, v154
	v_fmamk_f32 v106, v239, 0x3f737871, v95
	v_fmac_f32_e32 v95, 0xbf737871, v239
	v_mul_f32_e32 v112, 0xbf4f1bbd, v253
	ds_read2_b64 v[108:111], v236 offset0:16 offset1:32
	ds_read2_b64 v[144:147], v236 offset0:112 offset1:128
	;; [unrolled: 1-line block ×5, first 2 shown]
	s_waitcnt lgkmcnt(0)
	v_fmac_f32_e32 v106, 0xbf167918, v240
	v_fmac_f32_e32 v95, 0x3f167918, v240
	s_barrier
	buffer_gl0_inv
	ds_write_b128 v246, v[148:151]
	v_fmac_f32_e32 v106, 0x3e9e377a, v99
	v_fmac_f32_e32 v95, 0x3e9e377a, v99
	v_add_f32_e32 v99, v129, v117
	v_fmac_f32_e32 v242, 0x3e9e377a, v248
	v_fmac_f32_e32 v112, 0x3f167918, v251
	v_add_f32_e32 v116, v126, v122
	v_add_f32_e32 v117, v127, v123
	v_fma_f32 v99, -0.5, v99, v113
	v_sub_f32_e32 v121, v126, v122
	v_sub_f32_e32 v124, v118, v122
	;; [unrolled: 1-line block ×3, first 2 shown]
	v_fma_f32 v129, -0.5, v116, v114
	v_fmamk_f32 v107, v254, 0xbf737871, v99
	v_fmac_f32_e32 v99, 0x3f737871, v254
	v_sub_f32_e32 v113, v127, v131
	v_sub_f32_e32 v120, v127, v123
	v_add_f32_e32 v116, v141, v137
	v_fmac_f32_e32 v107, 0x3f167918, v255
	v_fmac_f32_e32 v99, 0xbf167918, v255
	v_sub_f32_e32 v154, v144, v132
	v_sub_f32_e32 v156, v140, v136
	v_fmac_f32_e32 v107, 0x3e9e377a, v103
	v_fmac_f32_e32 v99, 0x3e9e377a, v103
	v_mul_f32_e32 v103, 0xbf737871, v107
	v_mul_f32_e32 v107, 0x3e9e377a, v107
	v_fmac_f32_e32 v103, 0x3e9e377a, v106
	v_fmac_f32_e32 v107, 0x3f737871, v106
	v_mul_f32_e32 v106, 0xbf737871, v99
	v_mul_f32_e32 v99, 0xbe9e377a, v99
	v_add_f32_e32 v148, v102, v103
	v_add_f32_e32 v149, v98, v107
	v_fmac_f32_e32 v106, 0xbe9e377a, v95
	v_fmac_f32_e32 v99, 0x3f737871, v95
	v_mul_f32_e32 v95, 0xbf167918, v253
	v_add_f32_e32 v150, v94, v106
	v_add_f32_e32 v151, v234, v99
	v_fmac_f32_e32 v95, 0xbf4f1bbd, v251
	ds_write_b128 v246, v[148:151] offset:16
	v_sub_f32_e32 v150, v157, v160
	v_sub_f32_e32 v151, v159, v161
	v_add_f32_e32 v148, v242, v95
	v_add_f32_e32 v149, v243, v112
	ds_write_b128 v246, v[148:151] offset:32
	v_sub_f32_e32 v148, v244, v238
	v_sub_f32_e32 v150, v102, v103
	v_sub_f32_e32 v149, v153, v237
	v_sub_f32_e32 v151, v98, v107
	v_sub_f32_e32 v98, v131, v119
	v_sub_f32_e32 v102, v126, v130
	v_sub_f32_e32 v107, v131, v127
	v_add_f32_e32 v103, v131, v119
	ds_write_b128 v246, v[148:151] offset:48
	v_sub_f32_e32 v148, v94, v106
	v_add_f32_e32 v94, v114, v130
	v_add_f32_e32 v106, v115, v131
	v_sub_f32_e32 v149, v234, v99
	v_sub_f32_e32 v150, v242, v95
	;; [unrolled: 1-line block ×3, first 2 shown]
	v_add_f32_e32 v94, v94, v126
	v_add_f32_e32 v106, v106, v127
	;; [unrolled: 1-line block ×3, first 2 shown]
	v_sub_f32_e32 v99, v130, v126
	v_sub_f32_e32 v112, v130, v118
	v_add_f32_e32 v94, v94, v122
	v_add_f32_e32 v106, v106, v123
	v_sub_f32_e32 v122, v122, v118
	v_add_f32_e32 v99, v99, v124
	v_add_f32_e32 v124, v107, v125
	;; [unrolled: 1-line block ×4, first 2 shown]
	v_sub_f32_e32 v106, v144, v140
	v_sub_f32_e32 v118, v132, v136
	v_fma_f32 v125, -0.5, v117, v115
	v_fmamk_f32 v107, v98, 0xbf737871, v129
	v_fmac_f32_e32 v115, -0.5, v103
	ds_write_b128 v246, v[148:151] offset:64
	v_add_f32_e32 v127, v106, v118
	v_sub_f32_e32 v106, v145, v141
	v_sub_f32_e32 v118, v133, v137
	v_fmac_f32_e32 v107, 0xbf167918, v120
	v_sub_f32_e32 v123, v123, v119
	v_fma_f32 v149, -0.5, v116, v109
	v_sub_f32_e32 v150, v145, v133
	v_add_f32_e32 v128, v106, v118
	v_fmamk_f32 v106, v112, 0x3f737871, v125
	v_fmac_f32_e32 v107, 0x3e9e377a, v99
	v_add_f32_e32 v103, v113, v123
	v_sub_f32_e32 v151, v141, v137
	v_fmamk_f32 v155, v154, 0x3f737871, v149
	v_fmac_f32_e32 v106, 0x3f167918, v121
	v_mul_f32_e32 v131, 0x3f167918, v107
	v_fma_f32 v95, -0.5, v95, v114
	v_add_f32_e32 v102, v102, v122
	v_fmac_f32_e32 v155, 0x3f167918, v156
	v_fmac_f32_e32 v106, 0x3e9e377a, v124
	v_fmac_f32_e32 v125, 0xbf737871, v112
	v_fmac_f32_e32 v129, 0x3f737871, v98
	v_fmac_f32_e32 v149, 0xbf737871, v154
	v_fmac_f32_e32 v155, 0x3e9e377a, v128
	v_mul_f32_e32 v130, 0xbf167918, v106
	v_fmac_f32_e32 v131, 0x3f4f1bbd, v106
	v_add_f32_e32 v106, v108, v144
	v_fmac_f32_e32 v125, 0xbf167918, v121
	v_fmac_f32_e32 v129, 0x3f167918, v120
	;; [unrolled: 1-line block ×3, first 2 shown]
	v_add_f32_e32 v107, v140, v136
	v_add_f32_e32 v106, v106, v140
	;; [unrolled: 1-line block ×3, first 2 shown]
	v_fmac_f32_e32 v125, 0x3e9e377a, v124
	v_fmac_f32_e32 v149, 0xbf167918, v156
	v_fma_f32 v148, -0.5, v107, v108
	v_add_f32_e32 v106, v106, v136
	v_add_f32_e32 v107, v109, v145
	v_fmac_f32_e32 v129, 0x3e9e377a, v99
	v_fmac_f32_e32 v149, 0x3e9e377a, v128
	v_fmamk_f32 v153, v150, 0xbf737871, v148
	v_add_f32_e32 v157, v106, v132
	v_fmamk_f32 v106, v121, 0xbf737871, v115
	v_fmac_f32_e32 v115, 0x3f737871, v121
	v_add_f32_e32 v107, v107, v141
	v_fmac_f32_e32 v153, 0xbf167918, v151
	v_add_f32_e32 v116, v157, v94
	v_fmac_f32_e32 v106, 0x3f167918, v112
	v_fmac_f32_e32 v115, 0xbf167918, v112
	v_add_f32_e32 v107, v107, v137
	v_fmac_f32_e32 v153, 0x3e9e377a, v127
	v_fmac_f32_e32 v148, 0x3f737871, v150
	;; [unrolled: 1-line block ×4, first 2 shown]
	v_add_f32_e32 v158, v107, v133
	v_sub_f32_e32 v107, v140, v144
	v_add_f32_e32 v118, v153, v130
	v_fmamk_f32 v103, v120, 0x3f737871, v95
	v_mul_f32_e32 v113, 0xbf737871, v115
	v_mul_f32_e32 v114, 0xbe9e377a, v115
	v_sub_f32_e32 v115, v136, v132
	v_add_f32_e32 v117, v158, v126
	v_fmac_f32_e32 v95, 0xbf737871, v120
	v_fmac_f32_e32 v103, 0xbf167918, v98
	;; [unrolled: 1-line block ×3, first 2 shown]
	v_add_f32_e32 v107, v107, v115
	v_add_f32_e32 v115, v144, v132
	ds_write_b128 v245, v[116:119]
	v_fmac_f32_e32 v95, 0x3f167918, v98
	v_fmac_f32_e32 v103, 0x3e9e377a, v102
	v_mul_f32_e32 v119, 0x3e9e377a, v106
	v_fma_f32 v115, -0.5, v115, v108
	v_sub_f32_e32 v108, v137, v133
	v_fmac_f32_e32 v95, 0x3e9e377a, v102
	v_mul_f32_e32 v102, 0xbf737871, v106
	v_fmac_f32_e32 v119, 0x3f737871, v103
	v_fmamk_f32 v116, v151, 0x3f737871, v115
	v_fmac_f32_e32 v115, 0xbf737871, v151
	v_fmac_f32_e32 v113, 0xbe9e377a, v95
	;; [unrolled: 1-line block ×6, first 2 shown]
	v_mul_f32_e32 v95, 0xbf4f1bbd, v125
	v_fmac_f32_e32 v148, 0x3e9e377a, v127
	v_add_f32_e32 v120, v92, v96
	v_fmac_f32_e32 v116, 0x3e9e377a, v107
	v_fmac_f32_e32 v115, 0x3e9e377a, v107
	v_sub_f32_e32 v107, v141, v145
	v_fmac_f32_e32 v95, 0x3f167918, v129
	v_sub_f32_e32 v122, v97, v232
	v_add_f32_e32 v106, v116, v102
	v_sub_f32_e32 v127, v97, v105
	v_add_f32_e32 v107, v107, v108
	v_add_f32_e32 v108, v145, v133
	;; [unrolled: 1-line block ×3, first 2 shown]
	v_sub_f32_e32 v123, v96, v104
	v_sub_f32_e32 v124, v104, v96
	v_add_f32_e32 v120, v120, v104
	v_fma_f32 v117, -0.5, v108, v109
	v_add_f32_e32 v108, v115, v113
	v_add_f32_e32 v128, v104, v100
	v_sub_f32_e32 v104, v104, v100
	v_sub_f32_e32 v96, v96, v231
	v_fmamk_f32 v118, v156, 0xbf737871, v117
	v_fmac_f32_e32 v117, 0x3f737871, v156
	v_add_f32_e32 v120, v120, v100
	v_add_f32_e32 v99, v146, v134
	;; [unrolled: 1-line block ×3, first 2 shown]
	v_fmac_f32_e32 v118, 0x3f167918, v154
	v_fmac_f32_e32 v117, 0xbf167918, v154
	v_sub_f32_e32 v112, v146, v134
	v_sub_f32_e32 v98, v146, v142
	v_add_f32_e32 v103, v103, v143
	v_fmac_f32_e32 v118, 0x3e9e377a, v107
	v_fmac_f32_e32 v117, 0x3e9e377a, v107
	v_add_f32_e32 v120, v120, v231
	v_add_f32_e32 v103, v103, v139
	;; [unrolled: 1-line block ×5, first 2 shown]
	ds_write_b128 v245, v[106:109] offset:16
	v_sub_f32_e32 v108, v157, v94
	v_mul_f32_e32 v94, 0xbf167918, v125
	v_sub_f32_e32 v109, v158, v126
	v_add_f32_e32 v107, v149, v95
	v_add_f32_e32 v126, v93, v97
	;; [unrolled: 1-line block ×3, first 2 shown]
	v_fmac_f32_e32 v94, 0xbf4f1bbd, v129
	v_sub_f32_e32 v97, v105, v97
	v_sub_f32_e32 v129, v105, v101
	v_add_f32_e32 v126, v126, v105
	v_add_f32_e32 v105, v105, v101
	;; [unrolled: 1-line block ×4, first 2 shown]
	v_fma_f32 v132, -0.5, v105, v93
	ds_write_b128 v245, v[106:109] offset:32
	v_sub_f32_e32 v106, v153, v130
	v_sub_f32_e32 v108, v116, v102
	;; [unrolled: 1-line block ×4, first 2 shown]
	v_fmac_f32_e32 v93, -0.5, v125
	v_sub_f32_e32 v102, v142, v146
	v_sub_f32_e32 v119, v139, v135
	;; [unrolled: 1-line block ×3, first 2 shown]
	ds_write_b128 v245, v[106:109] offset:48
	v_sub_f32_e32 v106, v115, v113
	v_sub_f32_e32 v108, v148, v94
	;; [unrolled: 1-line block ×6, first 2 shown]
	v_fmamk_f32 v105, v104, 0xbf737871, v93
	v_fmac_f32_e32 v93, 0x3f737871, v104
	ds_write_b128 v245, v[106:109] offset:64
	v_sub_f32_e32 v107, v143, v147
	v_fma_f32 v125, -0.5, v128, v92
	v_fma_f32 v92, -0.5, v121, v92
	v_sub_f32_e32 v130, v231, v100
	v_sub_f32_e32 v100, v100, v231
	v_add_f32_e32 v97, v97, v101
	v_fmac_f32_e32 v93, 0xbf167918, v96
	v_add_f32_e32 v102, v102, v117
	v_add_f32_e32 v117, v107, v119
	v_fmamk_f32 v119, v129, 0x3f737871, v92
	v_fmac_f32_e32 v92, 0xbf737871, v129
	v_fmac_f32_e32 v93, 0x3e9e377a, v97
	v_add_f32_e32 v100, v124, v100
	v_add_f32_e32 v108, v142, v138
	v_sub_f32_e32 v109, v143, v139
	v_fmac_f32_e32 v92, 0x3f167918, v122
	v_mul_f32_e32 v101, 0xbf737871, v93
	v_mul_f32_e32 v93, 0xbe9e377a, v93
	v_sub_f32_e32 v95, v147, v135
	v_fmac_f32_e32 v105, 0x3f167918, v96
	v_fmac_f32_e32 v92, 0x3e9e377a, v100
	v_add_f32_e32 v94, v110, v146
	v_add_f32_e32 v106, v147, v135
	;; [unrolled: 1-line block ×3, first 2 shown]
	v_fmac_f32_e32 v105, 0x3e9e377a, v97
	v_fmac_f32_e32 v101, 0xbe9e377a, v92
	;; [unrolled: 1-line block ×3, first 2 shown]
	v_fma_f32 v92, -0.5, v99, v110
	v_fma_f32 v99, -0.5, v108, v110
	v_fmamk_f32 v97, v96, 0x3f737871, v132
	v_add_f32_e32 v110, v127, v131
	v_fmac_f32_e32 v132, 0xbf737871, v96
	v_fmamk_f32 v108, v109, 0x3f737871, v92
	v_fmac_f32_e32 v92, 0xbf737871, v109
	v_fmamk_f32 v96, v95, 0xbf737871, v99
	v_fmac_f32_e32 v99, 0x3f737871, v95
	v_fmac_f32_e32 v97, 0x3f167918, v104
	v_fmac_f32_e32 v108, 0xbf167918, v95
	v_fmac_f32_e32 v92, 0x3f167918, v95
	v_fmamk_f32 v95, v122, 0xbf737871, v125
	v_fmac_f32_e32 v125, 0x3f737871, v122
	v_fma_f32 v114, -0.5, v114, v111
	v_fmac_f32_e32 v111, -0.5, v106
	v_fmac_f32_e32 v92, 0x3e9e377a, v102
	v_fmac_f32_e32 v95, 0xbf167918, v129
	;; [unrolled: 1-line block ×4, first 2 shown]
	v_sub_f32_e32 v115, v142, v138
	v_add_f32_e32 v106, v92, v101
	v_sub_f32_e32 v92, v92, v101
	v_add_f32_e32 v101, v123, v130
	v_sub_f32_e32 v113, v147, v143
	v_sub_f32_e32 v116, v134, v138
	;; [unrolled: 1-line block ×3, first 2 shown]
	v_fmamk_f32 v124, v115, 0xbf737871, v111
	v_fmac_f32_e32 v95, 0x3e9e377a, v101
	v_fmac_f32_e32 v125, 0x3e9e377a, v101
	v_mul_f32_e32 v101, 0xbf167918, v97
	v_fmac_f32_e32 v111, 0x3f737871, v115
	v_add_f32_e32 v98, v98, v116
	v_fmac_f32_e32 v132, 0xbf167918, v104
	v_fmac_f32_e32 v96, 0xbf167918, v109
	v_fmac_f32_e32 v101, 0x3f4f1bbd, v95
	v_mul_f32_e32 v95, 0x3f167918, v95
	v_fmac_f32_e32 v111, 0xbf167918, v112
	v_add_f32_e32 v113, v113, v118
	v_add_f32_e32 v94, v94, v142
	v_fmac_f32_e32 v119, 0xbf167918, v122
	v_fmac_f32_e32 v95, 0x3f4f1bbd, v97
	v_fmamk_f32 v97, v112, 0x3f737871, v114
	v_fmac_f32_e32 v111, 0x3e9e377a, v117
	v_fmac_f32_e32 v99, 0x3f167918, v109
	v_fmac_f32_e32 v132, 0x3e9e377a, v110
	v_fmac_f32_e32 v96, 0x3e9e377a, v98
	v_fmac_f32_e32 v97, 0x3f167918, v115
	v_add_f32_e32 v94, v94, v138
	v_add_f32_e32 v107, v111, v93
	v_sub_f32_e32 v93, v111, v93
	v_fmac_f32_e32 v119, 0x3e9e377a, v100
	v_fmac_f32_e32 v97, 0x3e9e377a, v113
	;; [unrolled: 1-line block ×3, first 2 shown]
	v_mul_f32_e32 v98, 0xbf737871, v105
	v_mul_f32_e32 v109, 0xbf167918, v132
	v_sub_f32_e32 v100, v96, v101
	v_add_f32_e32 v110, v96, v101
	v_add_f32_e32 v111, v97, v95
	v_sub_f32_e32 v101, v97, v95
	v_fmac_f32_e32 v124, 0x3f167918, v112
	v_mul_f32_e32 v95, 0x3e9e377a, v105
	v_add_f32_e32 v94, v94, v134
	v_add_f32_e32 v121, v126, v232
	v_fmac_f32_e32 v108, 0x3e9e377a, v102
	v_fmac_f32_e32 v98, 0x3e9e377a, v119
	;; [unrolled: 1-line block ×6, first 2 shown]
	v_add_f32_e32 v104, v108, v98
	v_sub_f32_e32 v102, v108, v98
	v_add_f32_e32 v108, v94, v120
	v_sub_f32_e32 v98, v94, v120
	;; [unrolled: 2-line block ×5, first 2 shown]
	v_fmac_f32_e32 v114, 0xbf167918, v115
	v_mul_f32_e32 v95, 0xbf4f1bbd, v132
	v_fmac_f32_e32 v114, 0x3e9e377a, v113
	v_fmac_f32_e32 v95, 0x3f167918, v125
	v_add_f32_e32 v97, v114, v95
	v_sub_f32_e32 v95, v114, v95
	ds_write_b128 v241, v[108:111]
	ds_write_b128 v241, v[104:107] offset:16
	ds_write_b128 v241, v[96:99] offset:32
	;; [unrolled: 1-line block ×4, first 2 shown]
	s_waitcnt lgkmcnt(0)
	s_barrier
	buffer_gl0_inv
	ds_read_b64 v[150:151], v163
	ds_read_b64 v[148:149], v236 offset:3616
	ds_read2_b64 v[144:147], v236 offset0:60 offset1:76
	ds_read2_b64 v[124:127], v236 offset0:92 offset1:120
	;; [unrolled: 1-line block ×9, first 2 shown]
	ds_read2_b64 v[120:123], v247 offset1:16
	ds_read2_b64 v[108:111], v247 offset0:120 offset1:136
	s_and_saveexec_b32 s0, vcc_lo
	s_cbranch_execz .LBB0_7
; %bb.6:
	ds_read2_b64 v[96:99], v236 offset0:48 offset1:108
	ds_read2_b64 v[100:103], v236 offset0:168 offset1:228
	;; [unrolled: 1-line block ×4, first 2 shown]
.LBB0_7:
	s_or_b32 exec_lo, exec_lo, s0
	s_waitcnt lgkmcnt(10)
	v_mul_f32_e32 v153, v13, v145
	v_mul_f32_e32 v13, v13, v144
	s_waitcnt lgkmcnt(9)
	v_mul_f32_e32 v154, v15, v127
	v_mul_f32_e32 v15, v15, v126
	s_waitcnt lgkmcnt(0)
	v_fmac_f32_e32 v153, v12, v144
	v_fma_f32 v12, v12, v145, -v13
	v_mul_f32_e32 v13, v25, v141
	v_mul_f32_e32 v25, v25, v140
	v_fmac_f32_e32 v154, v14, v126
	v_fma_f32 v14, v14, v127, -v15
	v_mul_f32_e32 v15, v27, v119
	v_fmac_f32_e32 v13, v24, v140
	v_fma_f32 v24, v24, v141, -v25
	v_mul_f32_e32 v25, v27, v118
	v_mul_f32_e32 v27, v17, v137
	v_fmac_f32_e32 v15, v26, v118
	v_mul_f32_e32 v118, v19, v115
	v_mul_f32_e32 v19, v19, v114
	;; [unrolled: 1-line block ×3, first 2 shown]
	v_fma_f32 v25, v26, v119, -v25
	v_fmac_f32_e32 v27, v16, v136
	v_fmac_f32_e32 v118, v18, v114
	v_fma_f32 v18, v18, v115, -v19
	v_mul_f32_e32 v114, v45, v147
	v_mul_f32_e32 v19, v45, v146
	;; [unrolled: 1-line block ×4, first 2 shown]
	v_fma_f32 v16, v16, v137, -v17
	v_fmac_f32_e32 v114, v44, v146
	v_fma_f32 v44, v44, v147, -v19
	v_mul_f32_e32 v19, v47, v128
	v_fmac_f32_e32 v45, v46, v128
	v_fmac_f32_e32 v115, v42, v120
	v_mul_f32_e32 v17, v218, v133
	v_mul_f32_e32 v26, v218, v132
	v_fma_f32 v46, v46, v129, -v19
	v_mul_f32_e32 v19, v43, v120
	v_mul_f32_e32 v43, v39, v109
	;; [unrolled: 1-line block ×4, first 2 shown]
	v_fmac_f32_e32 v17, v217, v132
	v_fma_f32 v42, v42, v121, -v19
	v_mul_f32_e32 v19, v39, v108
	v_fmac_f32_e32 v43, v38, v108
	v_mul_f32_e32 v108, v33, v125
	v_mul_f32_e32 v33, v33, v124
	v_fmac_f32_e32 v120, v28, v116
	v_fma_f32 v38, v38, v109, -v19
	v_mul_f32_e32 v19, v220, v134
	v_fmac_f32_e32 v108, v32, v124
	v_mul_f32_e32 v124, v31, v123
	v_fma_f32 v116, v28, v117, -v29
	v_mul_f32_e32 v117, v21, v113
	v_fma_f32 v39, v219, v135, -v19
	v_mul_f32_e32 v19, v35, v130
	v_fmac_f32_e32 v124, v30, v122
	v_fma_f32 v26, v217, v133, -v26
	v_fmac_f32_e32 v117, v20, v112
	v_sub_f32_e32 v15, v150, v15
	v_fma_f32 v121, v34, v131, -v19
	v_mul_f32_e32 v19, v31, v122
	v_sub_f32_e32 v18, v14, v18
	v_sub_f32_e32 v16, v12, v16
	v_sub_f32_e32 v17, v13, v17
	v_sub_f32_e32 v26, v24, v26
	v_fma_f32 v122, v30, v123, -v19
	v_mul_f32_e32 v19, v21, v112
	v_mul_f32_e32 v123, v23, v111
	;; [unrolled: 1-line block ×3, first 2 shown]
	v_fma_f32 v14, v14, 2.0, -v18
	v_fma_f32 v12, v12, 2.0, -v16
	v_fma_f32 v113, v20, v113, -v19
	v_sub_f32_e32 v19, v151, v25
	v_sub_f32_e32 v20, v154, v118
	v_fmac_f32_e32 v123, v22, v110
	v_fma_f32 v110, v22, v111, -v21
	v_fma_f32 v21, v150, 2.0, -v15
	v_sub_f32_e32 v22, v153, v27
	v_fma_f32 v23, v151, 2.0, -v19
	v_fma_f32 v25, v154, 2.0, -v20
	;; [unrolled: 1-line block ×3, first 2 shown]
	v_add_f32_e32 v29, v15, v18
	v_fma_f32 v27, v153, 2.0, -v22
	v_sub_f32_e32 v28, v23, v14
	v_sub_f32_e32 v25, v21, v25
	v_fma_f32 v14, v24, 2.0, -v26
	v_add_f32_e32 v26, v22, v26
	v_fma_f32 v119, v32, v125, -v33
	v_sub_f32_e32 v32, v19, v20
	v_fma_f32 v18, v21, 2.0, -v25
	v_fma_f32 v21, v23, 2.0, -v28
	;; [unrolled: 1-line block ×3, first 2 shown]
	v_sub_f32_e32 v23, v27, v13
	v_sub_f32_e32 v30, v16, v17
	v_sub_f32_e32 v24, v12, v14
	v_fma_f32 v17, v22, 2.0, -v26
	v_mul_f32_e32 v47, v41, v143
	v_mul_f32_e32 v41, v41, v142
	v_fma_f32 v19, v19, 2.0, -v32
	v_fma_f32 v13, v27, 2.0, -v23
	;; [unrolled: 1-line block ×4, first 2 shown]
	v_fmamk_f32 v12, v17, 0xbf3504f3, v20
	v_fmac_f32_e32 v47, v40, v142
	v_fma_f32 v40, v40, v143, -v41
	v_mul_f32_e32 v41, v37, v139
	v_mul_f32_e32 v37, v37, v138
	v_sub_f32_e32 v14, v18, v13
	v_fmamk_f32 v13, v16, 0xbf3504f3, v19
	v_sub_f32_e32 v15, v21, v15
	v_fmac_f32_e32 v12, 0x3f3504f3, v16
	v_fmac_f32_e32 v41, v36, v138
	v_fma_f32 v36, v36, v139, -v37
	v_mul_f32_e32 v37, v220, v135
	v_mul_f32_e32 v22, v216, v148
	v_fma_f32 v16, v18, 2.0, -v14
	v_fmac_f32_e32 v13, 0xbf3504f3, v17
	v_fma_f32 v17, v21, 2.0, -v15
	v_fma_f32 v18, v20, 2.0, -v12
	v_add_f32_e32 v20, v25, v24
	v_sub_f32_e32 v21, v28, v23
	v_fmamk_f32 v23, v30, 0x3f3504f3, v32
	v_fmac_f32_e32 v37, v219, v134
	v_mul_f32_e32 v109, v35, v131
	v_fma_f32 v111, v215, v149, -v22
	v_fmamk_f32 v22, v26, 0x3f3504f3, v29
	v_fma_f32 v24, v25, 2.0, -v20
	v_fma_f32 v25, v28, 2.0, -v21
	v_sub_f32_e32 v27, v104, v115
	v_fmac_f32_e32 v23, 0xbf3504f3, v26
	v_sub_f32_e32 v26, v105, v42
	v_sub_f32_e32 v28, v45, v43
	;; [unrolled: 1-line block ×3, first 2 shown]
	v_fmac_f32_e32 v109, v34, v130
	v_fmac_f32_e32 v22, 0x3f3504f3, v30
	v_fma_f32 v30, v104, 2.0, -v27
	v_sub_f32_e32 v33, v114, v41
	v_fma_f32 v34, v105, 2.0, -v26
	v_fma_f32 v35, v45, 2.0, -v28
	v_sub_f32_e32 v36, v44, v36
	v_fma_f32 v38, v46, 2.0, -v31
	v_sub_f32_e32 v37, v47, v37
	v_sub_f32_e32 v39, v40, v39
	v_fma_f32 v41, v114, 2.0, -v33
	v_fma_f32 v42, v44, 2.0, -v36
	v_sub_f32_e32 v43, v30, v35
	v_sub_f32_e32 v44, v34, v38
	v_fma_f32 v35, v47, 2.0, -v37
	v_fma_f32 v38, v40, 2.0, -v39
	v_add_f32_e32 v45, v27, v31
	v_add_f32_e32 v46, v33, v39
	v_sub_f32_e32 v104, v26, v28
	v_sub_f32_e32 v47, v36, v37
	;; [unrolled: 1-line block ×3, first 2 shown]
	v_fma_f32 v39, v27, 2.0, -v45
	v_sub_f32_e32 v35, v42, v38
	v_fma_f32 v33, v33, 2.0, -v46
	v_fma_f32 v34, v34, 2.0, -v44
	v_fma_f32 v38, v26, 2.0, -v104
	v_fma_f32 v36, v36, 2.0, -v47
	v_fma_f32 v31, v42, 2.0, -v35
	v_fmamk_f32 v26, v33, 0xbf3504f3, v39
	v_mul_f32_e32 v112, v216, v149
	v_fma_f32 v40, v30, 2.0, -v43
	v_fmamk_f32 v27, v36, 0xbf3504f3, v38
	v_sub_f32_e32 v31, v34, v31
	v_fmac_f32_e32 v26, 0x3f3504f3, v36
	v_fmac_f32_e32 v112, v215, v148
	v_fma_f32 v30, v41, 2.0, -v37
	v_fmac_f32_e32 v27, 0xbf3504f3, v33
	v_fma_f32 v33, v34, 2.0, -v31
	v_fma_f32 v34, v39, 2.0, -v26
	v_fmamk_f32 v39, v47, 0x3f3504f3, v104
	v_add_f32_e32 v36, v43, v35
	v_fma_f32 v35, v38, 2.0, -v27
	v_sub_f32_e32 v37, v44, v37
	v_fmamk_f32 v38, v46, 0x3f3504f3, v45
	v_sub_f32_e32 v42, v106, v124
	v_fmac_f32_e32 v39, 0xbf3504f3, v46
	v_sub_f32_e32 v46, v109, v123
	v_sub_f32_e32 v30, v40, v30
	v_fma_f32 v41, v44, 2.0, -v37
	v_fma_f32 v44, v106, 2.0, -v42
	v_sub_f32_e32 v105, v108, v117
	v_fma_f32 v109, v109, 2.0, -v46
	v_sub_f32_e32 v112, v120, v112
	v_fma_f32 v28, v29, 2.0, -v22
	v_fma_f32 v29, v32, 2.0, -v23
	;; [unrolled: 1-line block ×4, first 2 shown]
	v_fmac_f32_e32 v38, 0x3f3504f3, v47
	v_sub_f32_e32 v43, v107, v122
	v_sub_f32_e32 v47, v121, v110
	v_fma_f32 v108, v108, 2.0, -v105
	v_sub_f32_e32 v111, v116, v111
	v_sub_f32_e32 v114, v44, v109
	v_fma_f32 v109, v120, 2.0, -v112
	v_fma_f32 v106, v107, 2.0, -v43
	v_sub_f32_e32 v107, v119, v113
	v_fma_f32 v110, v121, 2.0, -v47
	v_add_f32_e32 v117, v42, v47
	v_fma_f32 v47, v116, 2.0, -v111
	v_sub_f32_e32 v116, v43, v46
	v_sub_f32_e32 v109, v108, v109
	v_fma_f32 v113, v119, 2.0, -v107
	v_sub_f32_e32 v115, v106, v110
	v_fma_f32 v110, v44, 2.0, -v114
	v_add_f32_e32 v119, v105, v111
	v_sub_f32_e32 v112, v107, v112
	v_fma_f32 v120, v43, 2.0, -v116
	v_fma_f32 v43, v108, 2.0, -v109
	v_sub_f32_e32 v111, v113, v47
	v_fma_f32 v108, v105, 2.0, -v119
	v_fma_f32 v105, v107, 2.0, -v112
	v_fmamk_f32 v107, v112, 0x3f3504f3, v116
	v_sub_f32_e32 v44, v110, v43
	v_fma_f32 v47, v113, 2.0, -v111
	v_fma_f32 v43, v104, 2.0, -v39
	;; [unrolled: 1-line block ×3, first 2 shown]
	v_fmac_f32_e32 v107, 0xbf3504f3, v119
	v_fma_f32 v104, v110, 2.0, -v44
	v_add_f32_e32 v110, v114, v111
	v_sub_f32_e32 v111, v115, v109
	s_barrier
	buffer_gl0_inv
	v_fma_f32 v19, v19, 2.0, -v13
	v_fma_f32 v118, v42, 2.0, -v117
	;; [unrolled: 1-line block ×4, first 2 shown]
	buffer_load_dword v116, off, s[20:23], 0 offset:64 ; 4-byte Folded Reload
	v_fma_f32 v42, v45, 2.0, -v38
	v_fmamk_f32 v46, v108, 0xbf3504f3, v118
	v_sub_f32_e32 v45, v106, v47
	v_fmamk_f32 v47, v105, 0xbf3504f3, v120
	s_waitcnt vmcnt(0)
	ds_write2_b64 v116, v[16:17], v[18:19] offset1:10
	ds_write2_b64 v116, v[24:25], v[28:29] offset0:20 offset1:30
	ds_write2_b64 v116, v[14:15], v[12:13] offset0:40 offset1:50
	;; [unrolled: 1-line block ×3, first 2 shown]
	buffer_load_dword v12, off, s[20:23], 0 offset:60 ; 4-byte Folded Reload
	v_fmac_f32_e32 v46, 0x3f3504f3, v105
	v_fma_f32 v105, v106, 2.0, -v45
	v_fmamk_f32 v106, v119, 0x3f3504f3, v117
	v_fmac_f32_e32 v47, 0xbf3504f3, v108
	s_waitcnt vmcnt(0)
	ds_write2_b64 v12, v[32:33], v[34:35] offset1:10
	ds_write2_b64 v12, v[40:41], v[42:43] offset0:20 offset1:30
	ds_write2_b64 v12, v[30:31], v[26:27] offset0:40 offset1:50
	;; [unrolled: 1-line block ×3, first 2 shown]
	buffer_load_dword v12, off, s[20:23], 0 offset:56 ; 4-byte Folded Reload
	v_fmac_f32_e32 v106, 0x3f3504f3, v112
	v_fma_f32 v108, v118, 2.0, -v46
	v_fma_f32 v109, v120, 2.0, -v47
	v_fma_f32 v112, v114, 2.0, -v110
	v_fma_f32 v114, v117, 2.0, -v106
	s_waitcnt vmcnt(0)
	ds_write2_b64 v12, v[104:105], v[108:109] offset1:10
	ds_write2_b64 v12, v[112:113], v[114:115] offset0:20 offset1:30
	ds_write2_b64 v12, v[44:45], v[46:47] offset0:40 offset1:50
	;; [unrolled: 1-line block ×3, first 2 shown]
	s_and_saveexec_b32 s0, vcc_lo
	s_cbranch_execz .LBB0_9
; %bb.8:
	v_mul_f32_e32 v17, v1, v103
	v_mul_f32_e32 v1, v1, v102
	;; [unrolled: 1-line block ×8, first 2 shown]
	v_fma_f32 v21, v0, v103, -v1
	v_mul_f32_e32 v5, v5, v99
	v_mul_f32_e32 v1, v9, v95
	;; [unrolled: 1-line block ×5, first 2 shown]
	v_fma_f32 v12, v2, v93, -v12
	v_fmac_f32_e32 v13, v6, v100
	v_fma_f32 v15, v4, v99, -v15
	v_fmac_f32_e32 v17, v0, v102
	v_fmac_f32_e32 v18, v213, v54
	v_fma_f32 v0, v213, v55, -v19
	v_mul_f32_e32 v3, v3, v93
	v_fmac_f32_e32 v5, v4, v98
	v_fmac_f32_e32 v1, v8, v94
	v_fma_f32 v4, v6, v101, -v7
	v_fma_f32 v6, v10, v53, -v9
	v_fmac_f32_e32 v14, v10, v52
	v_sub_f32_e32 v12, v97, v12
	v_fma_f32 v16, v8, v95, -v16
	v_sub_f32_e32 v18, v17, v18
	v_fmac_f32_e32 v3, v2, v92
	v_sub_f32_e32 v7, v21, v0
	v_sub_f32_e32 v8, v5, v1
	;; [unrolled: 1-line block ×6, first 2 shown]
	v_fma_f32 v11, v97, 2.0, -v12
	v_fma_f32 v3, v4, 2.0, -v0
	;; [unrolled: 1-line block ×4, first 2 shown]
	v_sub_f32_e32 v2, v16, v18
	v_add_f32_e32 v9, v7, v8
	v_sub_f32_e32 v17, v11, v3
	v_fma_f32 v7, v21, 2.0, -v7
	v_sub_f32_e32 v18, v19, v4
	v_fma_f32 v4, v13, 2.0, -v14
	v_fma_f32 v13, v15, 2.0, -v16
	v_sub_f32_e32 v20, v12, v14
	v_add_f32_e32 v10, v0, v6
	v_sub_f32_e32 v5, v17, v18
	v_fma_f32 v22, v96, 2.0, -v6
	v_sub_f32_e32 v14, v13, v7
	v_fmamk_f32 v1, v2, 0x3f3504f3, v20
	v_fmamk_f32 v0, v9, 0x3f3504f3, v10
	v_fma_f32 v7, v17, 2.0, -v5
	v_fma_f32 v17, v11, 2.0, -v17
	;; [unrolled: 1-line block ×4, first 2 shown]
	buffer_load_dword v18, off, s[20:23], 0 offset:48 ; 4-byte Folded Reload
	v_fmac_f32_e32 v0, 0x3f3504f3, v2
	v_sub_f32_e32 v21, v22, v4
	v_fma_f32 v15, v16, 2.0, -v2
	v_fma_f32 v6, v6, 2.0, -v10
	;; [unrolled: 1-line block ×4, first 2 shown]
	v_add_f32_e32 v4, v21, v14
	v_mov_b32_e32 v10, 0x50
	v_fma_f32 v14, v22, 2.0, -v21
	v_fma_f32 v16, v8, 2.0, -v9
	v_fmac_f32_e32 v1, 0xbf3504f3, v9
	v_fmamk_f32 v9, v15, 0xbf3504f3, v12
	v_sub_f32_e32 v11, v17, v11
	v_fmamk_f32 v8, v16, 0xbf3504f3, v6
	v_fma_f32 v3, v20, 2.0, -v1
	v_fmac_f32_e32 v9, 0xbf3504f3, v16
	v_fmac_f32_e32 v8, 0x3f3504f3, v15
	v_fma_f32 v15, v17, 2.0, -v11
	s_waitcnt vmcnt(0)
	v_mul_u32_u24_sdwa v18, v18, v10 dst_sel:DWORD dst_unused:UNUSED_PAD src0_sel:WORD_0 src1_sel:DWORD
	v_sub_f32_e32 v10, v14, v13
	buffer_load_dword v13, off, s[20:23], 0 offset:52 ; 4-byte Folded Reload
	v_fma_f32 v14, v14, 2.0, -v10
	s_waitcnt vmcnt(0)
	v_or_b32_e32 v16, v18, v13
	v_fma_f32 v13, v12, 2.0, -v9
	v_fma_f32 v12, v6, 2.0, -v8
	;; [unrolled: 1-line block ×3, first 2 shown]
	v_add_lshl_u32 v16, v164, v16, 3
	ds_write2_b64 v16, v[14:15], v[12:13] offset1:10
	ds_write2_b64 v16, v[6:7], v[2:3] offset0:20 offset1:30
	ds_write2_b64 v16, v[10:11], v[8:9] offset0:40 offset1:50
	;; [unrolled: 1-line block ×3, first 2 shown]
.LBB0_9:
	s_or_b32 exec_lo, exec_lo, s0
	s_waitcnt lgkmcnt(0)
	s_barrier
	buffer_gl0_inv
	ds_read2_b64 v[8:11], v236 offset0:80 offset1:96
	ds_read2_b64 v[12:15], v236 offset0:144 offset1:160
	v_add_nc_u32_e32 v7, 0x400, v236
	v_add_nc_u32_e32 v6, 0x800, v236
	ds_read2_b64 v[16:19], v7 offset0:112 offset1:128
	ds_read2_b64 v[20:23], v236 offset0:16 offset1:32
	;; [unrolled: 1-line block ×8, first 2 shown]
	ds_read_b64 v[4:5], v163
	ds_read_b64 v[100:101], v236 offset:3712
	ds_read2_b64 v[44:47], v6 offset0:80 offset1:96
	ds_read2_b64 v[52:55], v6 offset0:16 offset1:32
	;; [unrolled: 1-line block ×4, first 2 shown]
	s_mov_b32 s0, 0x11111111
	s_mov_b32 s1, 0x3f611111
	s_mul_i32 s4, s9, 0xfffff300
	s_sub_i32 s4, s4, s8
	s_waitcnt lgkmcnt(15)
	v_mul_f32_e32 v102, v61, v9
	v_mul_f32_e32 v61, v61, v8
	s_waitcnt lgkmcnt(14)
	v_mul_f32_e32 v103, v63, v15
	v_mul_f32_e32 v63, v63, v14
	v_fmac_f32_e32 v102, v60, v8
	v_fma_f32 v8, v60, v9, -v61
	s_waitcnt lgkmcnt(13)
	v_mul_f32_e32 v9, v65, v17
	v_fmac_f32_e32 v103, v62, v14
	v_mul_f32_e32 v14, v65, v16
	s_waitcnt lgkmcnt(9)
	v_mul_f32_e32 v60, v67, v35
	s_waitcnt lgkmcnt(2)
	v_mul_f32_e32 v61, v77, v55
	v_fmac_f32_e32 v9, v64, v16
	v_mul_f32_e32 v16, v67, v34
	v_fma_f32 v14, v64, v17, -v14
	v_mul_f32_e32 v17, v224, v41
	v_fmac_f32_e32 v60, v66, v34
	v_mul_f32_e32 v34, v224, v40
	v_fma_f32 v16, v66, v35, -v16
	;; [unrolled: 4-line block ×4, first 2 shown]
	v_mul_f32_e32 v56, v49, v19
	v_mul_f32_e32 v11, v49, v18
	v_fmac_f32_e32 v41, v58, v24
	v_fma_f32 v24, v58, v25, -v10
	v_mul_f32_e32 v25, v51, v45
	v_fmac_f32_e32 v56, v48, v18
	v_fma_f32 v18, v48, v19, -v11
	v_mul_f32_e32 v19, v222, v43
	v_mul_f32_e32 v11, v222, v42
	;; [unrolled: 1-line block ×3, first 2 shown]
	v_fmac_f32_e32 v25, v50, v44
	v_mul_f32_e32 v51, v71, v47
	v_fmac_f32_e32 v19, v221, v42
	v_fma_f32 v42, v221, v43, -v11
	v_mul_f32_e32 v11, v75, v26
	v_fma_f32 v44, v50, v45, -v10
	v_mul_f32_e32 v10, v73, v28
	v_mul_f32_e32 v49, v69, v53
	v_fmac_f32_e32 v51, v70, v46
	v_fma_f32 v50, v74, v27, -v11
	v_mul_f32_e32 v11, v71, v46
	v_fma_f32 v48, v72, v29, -v10
	v_mul_f32_e32 v10, v69, v52
	v_fmac_f32_e32 v49, v68, v52
	v_fmac_f32_e32 v61, v76, v54
	v_fma_f32 v46, v70, v47, -v11
	v_mul_f32_e32 v11, v85, v30
	v_fma_f32 v52, v68, v53, -v10
	s_waitcnt lgkmcnt(1)
	v_mul_f32_e32 v10, v228, v92
	v_fma_f32 v15, v62, v15, -v63
	v_mul_f32_e32 v43, v75, v27
	v_fma_f32 v59, v84, v31, -v11
	;; [unrolled: 2-line block ×3, first 2 shown]
	v_mul_f32_e32 v10, v87, v36
	v_mul_f32_e32 v45, v73, v29
	v_fmac_f32_e32 v43, v74, v26
	v_fma_f32 v54, v76, v55, -v11
	v_mul_f32_e32 v11, v226, v94
	v_fma_f32 v62, v86, v37, -v10
	s_waitcnt lgkmcnt(0)
	v_mul_f32_e32 v10, v79, v96
	v_mul_f32_e32 v65, v81, v13
	v_fmac_f32_e32 v45, v72, v28
	v_fma_f32 v66, v225, v95, -v11
	v_mul_f32_e32 v11, v83, v38
	v_fma_f32 v64, v78, v97, -v10
	v_mul_f32_e32 v10, v81, v12
	v_fmac_f32_e32 v65, v80, v12
	v_add_f32_e32 v12, v4, v103
	v_fma_f32 v70, v82, v39, -v11
	v_mul_f32_e32 v11, v91, v98
	v_fma_f32 v68, v80, v13, -v10
	v_mul_f32_e32 v10, v89, v32
	v_add_f32_e32 v26, v12, v60
	v_add_f32_e32 v12, v5, v15
	v_fma_f32 v74, v90, v99, -v11
	v_add_f32_e32 v11, v103, v60
	v_fma_f32 v72, v88, v33, -v10
	v_mul_f32_e32 v10, v230, v100
	v_add_f32_e32 v27, v12, v16
	v_add_f32_e32 v12, v9, v17
	v_fma_f32 v4, -0.5, v11, v4
	v_sub_f32_e32 v11, v15, v16
	v_fma_f32 v75, v229, v101, -v10
	v_add_f32_e32 v10, v15, v16
	v_add_f32_e32 v13, v8, v14
	v_mul_f32_e32 v47, v85, v31
	v_fmamk_f32 v15, v11, 0xbf5db3d7, v4
	v_fmac_f32_e32 v4, 0x3f5db3d7, v11
	v_add_f32_e32 v11, v14, v34
	v_fmac_f32_e32 v5, -0.5, v10
	v_sub_f32_e32 v10, v103, v60
	v_fmac_f32_e32 v47, v84, v30
	v_add_f32_e32 v29, v13, v34
	v_fmac_f32_e32 v8, -0.5, v11
	v_sub_f32_e32 v11, v9, v17
	v_fmamk_f32 v28, v10, 0x3f5db3d7, v5
	v_add_f32_e32 v9, v102, v9
	v_fmac_f32_e32 v102, -0.5, v12
	v_sub_f32_e32 v12, v14, v34
	v_fmac_f32_e32 v5, 0xbf5db3d7, v10
	v_fmamk_f32 v10, v11, 0x3f5db3d7, v8
	v_fmac_f32_e32 v8, 0xbf5db3d7, v11
	v_add_f32_e32 v14, v9, v17
	v_fmamk_f32 v9, v12, 0xbf5db3d7, v102
	v_fmac_f32_e32 v102, 0x3f5db3d7, v12
	v_mul_f32_e32 v16, 0xbf5db3d7, v10
	v_mul_f32_e32 v17, 0xbf5db3d7, v8
	v_mul_f32_e32 v30, 0.5, v10
	v_mul_f32_e32 v31, -0.5, v8
	v_add_f32_e32 v8, v26, v14
	v_fmac_f32_e32 v16, 0.5, v9
	v_sub_f32_e32 v14, v26, v14
	v_add_f32_e32 v26, v41, v25
	v_fmac_f32_e32 v17, -0.5, v102
	v_fmac_f32_e32 v30, 0x3f5db3d7, v9
	v_add_f32_e32 v10, v15, v16
	v_add_f32_e32 v9, v27, v29
	v_sub_f32_e32 v16, v15, v16
	v_sub_f32_e32 v15, v27, v29
	v_add_f32_e32 v27, v20, v41
	v_fma_f32 v29, -0.5, v26, v20
	v_sub_f32_e32 v20, v24, v44
	v_mul_f32_e32 v69, v89, v33
	v_fmac_f32_e32 v31, 0x3f5db3d7, v102
	v_add_f32_e32 v12, v4, v17
	v_add_f32_e32 v11, v28, v30
	v_sub_f32_e32 v4, v4, v17
	v_sub_f32_e32 v17, v28, v30
	v_add_f32_e32 v28, v24, v44
	v_add_f32_e32 v26, v27, v25
	;; [unrolled: 1-line block ×3, first 2 shown]
	v_fmamk_f32 v27, v20, 0xbf5db3d7, v29
	v_fmac_f32_e32 v29, 0x3f5db3d7, v20
	v_add_f32_e32 v20, v18, v42
	v_fmac_f32_e32 v69, v88, v32
	v_add_f32_e32 v13, v5, v31
	v_sub_f32_e32 v5, v5, v31
	v_fma_f32 v31, -0.5, v28, v21
	v_sub_f32_e32 v21, v41, v25
	v_add_f32_e32 v32, v24, v44
	v_add_f32_e32 v24, v56, v19
	;; [unrolled: 1-line block ×3, first 2 shown]
	v_fmac_f32_e32 v40, -0.5, v20
	v_sub_f32_e32 v20, v56, v19
	v_fmamk_f32 v33, v21, 0x3f5db3d7, v31
	v_add_f32_e32 v28, v35, v56
	v_fmac_f32_e32 v35, -0.5, v24
	v_sub_f32_e32 v18, v18, v42
	v_fmac_f32_e32 v31, 0xbf5db3d7, v21
	v_fmamk_f32 v21, v20, 0x3f5db3d7, v40
	v_mul_f32_e32 v58, v87, v37
	v_fmac_f32_e32 v40, 0xbf5db3d7, v20
	v_add_f32_e32 v28, v28, v19
	v_fmamk_f32 v19, v18, 0xbf5db3d7, v35
	v_mul_f32_e32 v30, 0xbf5db3d7, v21
	v_fmac_f32_e32 v58, v86, v36
	v_mul_f32_e32 v67, v83, v39
	v_fmac_f32_e32 v35, 0x3f5db3d7, v18
	v_mul_f32_e32 v34, 0xbf5db3d7, v40
	v_add_f32_e32 v36, v25, v42
	v_mul_f32_e32 v37, 0.5, v21
	v_fmac_f32_e32 v30, 0.5, v19
	v_fmac_f32_e32 v67, v82, v38
	v_mul_f32_e32 v38, -0.5, v40
	v_fmac_f32_e32 v34, -0.5, v35
	v_add_f32_e32 v18, v26, v28
	v_fmac_f32_e32 v37, 0x3f5db3d7, v19
	v_add_f32_e32 v20, v27, v30
	v_add_f32_e32 v19, v32, v36
	v_sub_f32_e32 v26, v26, v28
	v_sub_f32_e32 v28, v27, v30
	;; [unrolled: 1-line block ×3, first 2 shown]
	v_add_f32_e32 v32, v43, v51
	v_mul_f32_e32 v53, v228, v93
	v_fmac_f32_e32 v38, 0x3f5db3d7, v35
	v_add_f32_e32 v24, v29, v34
	v_add_f32_e32 v21, v33, v37
	v_sub_f32_e32 v30, v29, v34
	v_sub_f32_e32 v29, v33, v37
	v_add_f32_e32 v33, v22, v43
	v_fma_f32 v22, -0.5, v32, v22
	v_sub_f32_e32 v32, v50, v46
	v_fmac_f32_e32 v53, v227, v92
	v_add_f32_e32 v25, v31, v38
	v_sub_f32_e32 v31, v31, v38
	v_add_f32_e32 v34, v50, v46
	v_add_f32_e32 v38, v33, v51
	;; [unrolled: 1-line block ×3, first 2 shown]
	v_fmamk_f32 v39, v32, 0xbf5db3d7, v22
	v_fmac_f32_e32 v22, 0x3f5db3d7, v32
	v_add_f32_e32 v32, v52, v57
	v_fmac_f32_e32 v23, -0.5, v34
	v_sub_f32_e32 v34, v43, v51
	v_add_f32_e32 v41, v33, v46
	v_add_f32_e32 v33, v49, v53
	;; [unrolled: 1-line block ×3, first 2 shown]
	v_fmac_f32_e32 v48, -0.5, v32
	v_sub_f32_e32 v32, v49, v53
	v_fmamk_f32 v42, v34, 0x3f5db3d7, v23
	v_add_f32_e32 v36, v45, v49
	v_fmac_f32_e32 v45, -0.5, v33
	v_sub_f32_e32 v33, v52, v57
	v_fmac_f32_e32 v23, 0xbf5db3d7, v34
	v_fmamk_f32 v34, v32, 0x3f5db3d7, v48
	v_mul_f32_e32 v63, v79, v97
	v_add_f32_e32 v40, v36, v53
	v_fmamk_f32 v36, v33, 0xbf5db3d7, v45
	v_fmac_f32_e32 v48, 0xbf5db3d7, v32
	v_mul_f32_e32 v43, 0xbf5db3d7, v34
	v_fmac_f32_e32 v63, v78, v96
	v_mul_f32_e32 v49, 0.5, v34
	v_fmac_f32_e32 v45, 0x3f5db3d7, v33
	v_mul_f32_e32 v44, 0xbf5db3d7, v48
	v_fmac_f32_e32 v43, 0.5, v36
	v_add_f32_e32 v46, v35, v57
	v_mul_f32_e32 v48, -0.5, v48
	v_add_f32_e32 v32, v38, v40
	v_fmac_f32_e32 v49, 0x3f5db3d7, v36
	v_add_f32_e32 v34, v39, v43
	v_sub_f32_e32 v38, v38, v40
	v_sub_f32_e32 v40, v39, v43
	v_add_f32_e32 v43, v58, v63
	v_mul_f32_e32 v55, v226, v95
	v_fmac_f32_e32 v44, -0.5, v45
	v_fmac_f32_e32 v48, 0x3f5db3d7, v45
	v_add_f32_e32 v33, v41, v46
	v_add_f32_e32 v35, v42, v49
	v_sub_f32_e32 v39, v41, v46
	v_sub_f32_e32 v41, v42, v49
	v_add_f32_e32 v42, v0, v58
	v_fma_f32 v49, -0.5, v43, v0
	v_sub_f32_e32 v0, v62, v64
	v_fmac_f32_e32 v55, v225, v94
	v_add_f32_e32 v36, v22, v44
	v_add_f32_e32 v37, v23, v48
	v_sub_f32_e32 v22, v22, v44
	v_sub_f32_e32 v23, v23, v48
	v_add_f32_e32 v44, v62, v64
	v_add_f32_e32 v46, v42, v63
	;; [unrolled: 1-line block ×3, first 2 shown]
	v_fmamk_f32 v48, v0, 0xbf5db3d7, v49
	v_fmac_f32_e32 v49, 0x3f5db3d7, v0
	v_add_f32_e32 v0, v54, v66
	v_fma_f32 v51, -0.5, v44, v1
	v_sub_f32_e32 v1, v58, v63
	v_add_f32_e32 v52, v42, v64
	v_add_f32_e32 v42, v61, v55
	;; [unrolled: 1-line block ×3, first 2 shown]
	v_fmac_f32_e32 v59, -0.5, v0
	v_sub_f32_e32 v0, v61, v55
	v_mul_f32_e32 v71, v91, v99
	v_fmamk_f32 v53, v1, 0x3f5db3d7, v51
	v_add_f32_e32 v44, v47, v61
	v_fmac_f32_e32 v47, -0.5, v42
	v_sub_f32_e32 v42, v54, v66
	v_fmac_f32_e32 v51, 0xbf5db3d7, v1
	v_fmamk_f32 v1, v0, 0x3f5db3d7, v59
	v_fmac_f32_e32 v59, 0xbf5db3d7, v0
	v_fmac_f32_e32 v71, v90, v98
	v_add_f32_e32 v50, v44, v55
	v_fmamk_f32 v44, v42, 0xbf5db3d7, v47
	v_fmac_f32_e32 v47, 0x3f5db3d7, v42
	v_mul_f32_e32 v55, 0xbf5db3d7, v59
	v_add_f32_e32 v56, v43, v66
	v_mul_f32_e32 v57, 0.5, v1
	v_mul_f32_e32 v58, -0.5, v59
	v_mul_f32_e32 v54, 0xbf5db3d7, v1
	v_fmac_f32_e32 v55, -0.5, v47
	v_add_f32_e32 v1, v52, v56
	v_fmac_f32_e32 v57, 0x3f5db3d7, v44
	v_fmac_f32_e32 v58, 0x3f5db3d7, v47
	v_sub_f32_e32 v47, v52, v56
	v_add_f32_e32 v52, v67, v71
	v_mul_f32_e32 v73, v230, v101
	v_fmac_f32_e32 v54, 0.5, v44
	v_add_f32_e32 v0, v46, v50
	v_add_f32_e32 v44, v49, v55
	;; [unrolled: 1-line block ×3, first 2 shown]
	v_sub_f32_e32 v46, v46, v50
	v_sub_f32_e32 v50, v49, v55
	v_sub_f32_e32 v49, v53, v57
	v_add_f32_e32 v53, v2, v67
	v_fma_f32 v2, -0.5, v52, v2
	v_sub_f32_e32 v52, v70, v74
	v_fmac_f32_e32 v73, v229, v100
	v_add_f32_e32 v42, v48, v54
	v_add_f32_e32 v45, v51, v58
	v_sub_f32_e32 v48, v48, v54
	v_sub_f32_e32 v51, v51, v58
	v_add_f32_e32 v54, v70, v74
	v_add_f32_e32 v58, v53, v71
	;; [unrolled: 1-line block ×3, first 2 shown]
	v_fmamk_f32 v59, v52, 0xbf5db3d7, v2
	v_fmac_f32_e32 v2, 0x3f5db3d7, v52
	v_add_f32_e32 v52, v72, v75
	v_fmac_f32_e32 v3, -0.5, v54
	v_sub_f32_e32 v54, v67, v71
	v_add_f32_e32 v61, v53, v74
	v_add_f32_e32 v53, v69, v73
	;; [unrolled: 1-line block ×3, first 2 shown]
	v_fmac_f32_e32 v68, -0.5, v52
	v_sub_f32_e32 v52, v69, v73
	v_fmamk_f32 v62, v54, 0x3f5db3d7, v3
	v_add_f32_e32 v56, v65, v69
	v_fmac_f32_e32 v65, -0.5, v53
	v_sub_f32_e32 v53, v72, v75
	v_fmac_f32_e32 v3, 0xbf5db3d7, v54
	v_fmamk_f32 v54, v52, 0x3f5db3d7, v68
	v_fmac_f32_e32 v68, 0xbf5db3d7, v52
	v_add_f32_e32 v60, v56, v73
	v_fmamk_f32 v56, v53, 0xbf5db3d7, v65
	v_fmac_f32_e32 v65, 0x3f5db3d7, v53
	v_mul_f32_e32 v63, 0xbf5db3d7, v54
	v_mul_f32_e32 v64, 0xbf5db3d7, v68
	v_mul_f32_e32 v68, -0.5, v68
	v_mul_f32_e32 v67, 0.5, v54
	v_add_f32_e32 v66, v55, v75
	v_fmac_f32_e32 v63, 0.5, v56
	v_fmac_f32_e32 v64, -0.5, v65
	v_fmac_f32_e32 v68, 0x3f5db3d7, v65
	v_fmac_f32_e32 v67, 0x3f5db3d7, v56
	v_add_f32_e32 v52, v58, v60
	v_add_f32_e32 v54, v59, v63
	;; [unrolled: 1-line block ×4, first 2 shown]
	v_sub_f32_e32 v2, v2, v64
	v_sub_f32_e32 v3, v3, v68
	v_add_f32_e32 v53, v61, v66
	v_add_f32_e32 v55, v62, v67
	v_sub_f32_e32 v58, v58, v60
	v_sub_f32_e32 v60, v59, v63
	;; [unrolled: 1-line block ×4, first 2 shown]
	ds_write_b64 v163, v[8:9]
	ds_write2_b64 v236, v[10:11], v[20:21] offset0:80 offset1:96
	ds_write2_b64 v7, v[14:15], v[26:27] offset0:112 offset1:128
	;; [unrolled: 1-line block ×14, first 2 shown]
	ds_write_b64 v236, v[2:3] offset:3712
	s_waitcnt lgkmcnt(0)
	s_barrier
	buffer_gl0_inv
	ds_read_b64 v[4:5], v163
	ds_read2_b64 v[0:3], v236 offset0:48 offset1:64
	ds_read_b64 v[36:37], v236 offset:3712
	v_mad_u64_u32 v[18:19], null, s10, v152, 0
	v_mad_u64_u32 v[22:23], null, s8, v235, 0
	v_mov_b32_e32 v16, v19
	v_mad_u64_u32 v[16:17], null, s11, v152, v[16:17]
	v_mov_b32_e32 v17, v23
	s_waitcnt lgkmcnt(2)
	v_mul_f32_e32 v8, v212, v5
	v_mul_f32_e32 v9, v212, v4
	s_waitcnt lgkmcnt(1)
	v_mul_f32_e32 v14, v208, v1
	v_mad_u64_u32 v[30:31], null, s9, v235, v[17:18]
	v_fmac_f32_e32 v8, v211, v4
	v_fma_f32 v9, v211, v5, -v9
	v_fmac_f32_e32 v14, v207, v0
	v_mul_f32_e32 v0, v208, v0
	v_cvt_f64_f32_e32 v[4:5], v8
	v_cvt_f64_f32_e32 v[12:13], v9
	ds_read2_b64 v[8:11], v236 offset0:80 offset1:96
	v_cvt_f64_f32_e32 v[14:15], v14
	v_fma_f32 v0, v207, v1, -v0
	v_mov_b32_e32 v23, v30
	v_cvt_f64_f32_e32 v[0:1], v0
	s_waitcnt lgkmcnt(0)
	v_mul_f32_e32 v19, v210, v11
	v_mul_f64 v[20:21], v[12:13], s[0:1]
	v_mul_f32_e32 v12, v210, v10
	v_mul_f64 v[4:5], v[4:5], s[0:1]
	v_mul_f64 v[24:25], v[14:15], s[0:1]
	v_fmac_f32_e32 v19, v209, v10
	v_fma_f32 v28, v209, v11, -v12
	ds_read2_b64 v[10:13], v236 offset0:144 offset1:160
	v_mul_f64 v[0:1], v[0:1], s[0:1]
	v_cvt_f64_f32_e32 v[26:27], v19
	v_mov_b32_e32 v19, v16
	v_cvt_f64_f32_e32 v[28:29], v28
	ds_read2_b64 v[14:17], v236 offset0:176 offset1:192
	v_lshlrev_b64 v[18:19], 3, v[18:19]
	v_add_co_u32 v32, vcc_lo, s2, v18
	v_add_co_ci_u32_e32 v33, vcc_lo, s3, v19, vcc_lo
	v_cvt_f32_f64_e32 v4, v[4:5]
	v_cvt_f32_f64_e32 v5, v[20:21]
	s_waitcnt lgkmcnt(1)
	v_mul_f32_e32 v18, v206, v11
	v_mul_f32_e32 v19, v206, v10
	v_lshlrev_b64 v[20:21], 3, v[22:23]
	v_cvt_f32_f64_e32 v30, v[24:25]
	v_mul_f64 v[22:23], v[26:27], s[0:1]
	v_fmac_f32_e32 v18, v205, v10
	v_fma_f32 v10, v205, v11, -v19
	v_mul_f64 v[24:25], v[28:29], s[0:1]
	s_waitcnt lgkmcnt(0)
	v_mul_f32_e32 v28, v204, v17
	v_mul_f32_e32 v19, v204, v16
	v_cvt_f32_f64_e32 v31, v[0:1]
	v_cvt_f64_f32_e32 v[10:11], v10
	v_cvt_f64_f32_e32 v[0:1], v18
	v_fmac_f32_e32 v28, v203, v16
	v_fma_f32 v34, v203, v17, -v19
	ds_read2_b64 v[16:19], v7 offset0:112 offset1:128
	v_add_co_u32 v26, vcc_lo, v32, v20
	v_cvt_f64_f32_e32 v[28:29], v28
	v_add_co_ci_u32_e32 v27, vcc_lo, v33, v21, vcc_lo
	v_cvt_f64_f32_e32 v[32:33], v34
	s_mul_i32 s2, s9, 0x180
	s_mul_hi_u32 s3, s8, 0x180
	global_store_dwordx2 v[26:27], v[4:5], off
	s_add_i32 s2, s3, s2
	v_cvt_f32_f64_e32 v34, v[22:23]
	ds_read2_b64 v[20:23], v6 offset0:16 offset1:32
	s_mul_i32 s3, s8, 0x180
	v_cvt_f32_f64_e32 v35, v[24:25]
	v_add_co_u32 v38, vcc_lo, v26, s3
	v_add_co_ci_u32_e32 v39, vcc_lo, s2, v27, vcc_lo
	ds_read2_b64 v[24:27], v6 offset0:80 offset1:96
	v_mul_f64 v[4:5], v[10:11], s[0:1]
	v_mul_f64 v[0:1], v[0:1], s[0:1]
	global_store_dwordx2 v[38:39], v[30:31], off
	s_waitcnt lgkmcnt(2)
	v_mul_f32_e32 v7, v202, v17
	v_mul_f32_e32 v30, v202, v16
	v_add_co_u32 v10, vcc_lo, v38, s3
	v_add_co_ci_u32_e32 v11, vcc_lo, s2, v39, vcc_lo
	v_mul_f64 v[38:39], v[28:29], s[0:1]
	v_fmac_f32_e32 v7, v201, v16
	v_fma_f32 v28, v201, v17, -v30
	v_mul_f64 v[40:41], v[32:33], s[0:1]
	s_waitcnt lgkmcnt(1)
	v_mul_f32_e32 v32, v200, v23
	v_mul_f32_e32 v29, v200, v22
	v_cvt_f64_f32_e32 v[16:17], v7
	v_cvt_f64_f32_e32 v[42:43], v28
	global_store_dwordx2 v[10:11], v[34:35], off
	v_fmac_f32_e32 v32, v199, v22
	v_fma_f32 v7, v199, v23, -v29
	s_waitcnt lgkmcnt(0)
	v_mul_f32_e32 v22, v198, v25
	ds_read2_b64 v[28:31], v6 offset0:112 offset1:128
	v_cvt_f32_f64_e32 v45, v[4:5]
	v_cvt_f32_f64_e32 v44, v[0:1]
	v_cvt_f64_f32_e32 v[4:5], v7
	v_fmac_f32_e32 v22, v197, v24
	v_mul_f32_e32 v7, v198, v24
	v_cvt_f64_f32_e32 v[0:1], v32
	ds_read2_b64 v[32:35], v6 offset0:176 offset1:192
	v_add_co_u32 v46, vcc_lo, v10, s3
	v_add_co_ci_u32_e32 v47, vcc_lo, s2, v11, vcc_lo
	v_fma_f32 v7, v197, v25, -v7
	v_cvt_f64_f32_e32 v[10:11], v22
	ds_read2_b64 v[22:25], v236 offset0:16 offset1:32
	v_cvt_f32_f64_e32 v38, v[38:39]
	v_cvt_f32_f64_e32 v39, v[40:41]
	v_mul_f64 v[16:17], v[16:17], s[0:1]
	v_mul_f64 v[40:41], v[42:43], s[0:1]
	v_cvt_f64_f32_e32 v[42:43], v7
	s_waitcnt lgkmcnt(2)
	v_mul_f32_e32 v7, v196, v31
	v_mul_f32_e32 v50, v196, v30
	v_add_co_u32 v48, vcc_lo, v46, s3
	v_add_co_ci_u32_e32 v49, vcc_lo, s2, v47, vcc_lo
	v_fmac_f32_e32 v7, v195, v30
	v_fma_f32 v50, v195, v31, -v50
	s_waitcnt lgkmcnt(1)
	v_mul_f32_e32 v52, v194, v33
	v_mul_f32_e32 v53, v194, v32
	v_mul_f64 v[4:5], v[4:5], s[0:1]
	v_cvt_f64_f32_e32 v[30:31], v7
	v_cvt_f64_f32_e32 v[50:51], v50
	v_mul_f64 v[0:1], v[0:1], s[0:1]
	s_waitcnt lgkmcnt(0)
	v_mul_f32_e32 v54, v192, v23
	v_fmac_f32_e32 v52, v193, v32
	v_fma_f32 v7, v193, v33, -v53
	v_mul_f32_e32 v55, v192, v22
	v_mul_f64 v[10:11], v[10:11], s[0:1]
	v_fmac_f32_e32 v54, v191, v22
	v_cvt_f64_f32_e32 v[32:33], v52
	v_cvt_f64_f32_e32 v[52:53], v7
	v_fma_f32 v7, v191, v23, -v55
	v_cvt_f32_f64_e32 v16, v[16:17]
	v_cvt_f32_f64_e32 v17, v[40:41]
	v_cvt_f64_f32_e32 v[40:41], v54
	v_mul_f64 v[22:23], v[42:43], s[0:1]
	v_cvt_f64_f32_e32 v[42:43], v7
	v_add_co_u32 v54, vcc_lo, v48, s3
	v_add_co_ci_u32_e32 v55, vcc_lo, s2, v49, vcc_lo
	v_cvt_f32_f64_e32 v57, v[4:5]
	v_mul_f64 v[4:5], v[30:31], s[0:1]
	v_mul_f64 v[30:31], v[50:51], s[0:1]
	v_cvt_f32_f64_e32 v56, v[0:1]
	v_mul_f32_e32 v0, v190, v3
	v_mul_f32_e32 v1, v190, v2
	v_add_co_u32 v50, vcc_lo, v54, s3
	v_cvt_f32_f64_e32 v60, v[10:11]
	v_fmac_f32_e32 v0, v189, v2
	v_fma_f32 v1, v189, v3, -v1
	v_mul_f64 v[58:59], v[32:33], s[0:1]
	v_mul_f64 v[52:53], v[52:53], s[0:1]
	v_add_co_ci_u32_e32 v51, vcc_lo, s2, v55, vcc_lo
	v_mul_f64 v[10:11], v[40:41], s[0:1]
	v_cvt_f32_f64_e32 v61, v[22:23]
	v_mul_f64 v[22:23], v[42:43], s[0:1]
	v_cvt_f64_f32_e32 v[40:41], v0
	v_cvt_f64_f32_e32 v[42:43], v1
	ds_read2_b64 v[0:3], v236 offset0:112 offset1:128
	v_add_co_u32 v62, vcc_lo, v50, s3
	v_cvt_f32_f64_e32 v4, v[4:5]
	v_cvt_f32_f64_e32 v5, v[30:31]
	ds_read2_b64 v[30:33], v236 offset0:208 offset1:224
	v_add_co_ci_u32_e32 v63, vcc_lo, s2, v51, vcc_lo
	v_add_co_u32 v64, vcc_lo, v62, s3
	global_store_dwordx2 v[46:47], v[44:45], off
	v_add_co_ci_u32_e32 v65, vcc_lo, s2, v63, vcc_lo
	v_cvt_f32_f64_e32 v58, v[58:59]
	v_cvt_f32_f64_e32 v59, v[52:53]
	v_add_co_u32 v52, vcc_lo, v64, s3
	v_cvt_f32_f64_e32 v66, v[10:11]
	v_mul_f32_e32 v11, v186, v13
	v_cvt_f32_f64_e32 v67, v[22:23]
	s_waitcnt lgkmcnt(1)
	v_mul_f32_e32 v7, v188, v1
	v_mul_f32_e32 v10, v188, v0
	v_mul_f64 v[22:23], v[40:41], s[0:1]
	v_fmac_f32_e32 v11, v185, v12
	v_mul_f32_e32 v12, v186, v12
	v_fmac_f32_e32 v7, v187, v0
	v_fma_f32 v10, v187, v1, -v10
	v_mul_f64 v[40:41], v[42:43], s[0:1]
	s_waitcnt lgkmcnt(0)
	v_mul_f32_e32 v74, v184, v31
	v_cvt_f64_f32_e32 v[68:69], v11
	v_cvt_f64_f32_e32 v[0:1], v7
	;; [unrolled: 1-line block ×3, first 2 shown]
	v_fma_f32 v7, v185, v13, -v12
	v_mul_f32_e32 v10, v184, v30
	v_fmac_f32_e32 v74, v183, v30
	v_add_co_ci_u32_e32 v53, vcc_lo, s2, v65, vcc_lo
	v_cvt_f64_f32_e32 v[72:73], v7
	v_fma_f32 v7, v183, v31, -v10
	ds_read2_b64 v[10:13], v6 offset0:48 offset1:64
	v_cvt_f64_f32_e32 v[74:75], v74
	v_mad_u64_u32 v[70:71], null, 0xfffff300, s8, v[52:53]
	v_cvt_f64_f32_e32 v[30:31], v7
	global_store_dwordx2 v[48:49], v[38:39], off
	global_store_dwordx2 v[54:55], v[16:17], off
	v_cvt_f32_f64_e32 v16, v[22:23]
	v_mul_f32_e32 v54, v172, v35
	v_add_nc_u32_e32 v71, s4, v71
	global_store_dwordx2 v[50:51], v[56:57], off
	global_store_dwordx2 v[62:63], v[60:61], off
	;; [unrolled: 1-line block ×5, first 2 shown]
	v_mul_f32_e32 v4, v182, v19
	v_mul_f32_e32 v5, v182, v18
	v_mul_f64 v[0:1], v[0:1], s[0:1]
	v_mul_f64 v[22:23], v[42:43], s[0:1]
	v_cvt_f32_f64_e32 v17, v[40:41]
	v_fmac_f32_e32 v4, v181, v18
	v_mul_f64 v[38:39], v[68:69], s[0:1]
	v_fma_f32 v5, v181, v19, -v5
	s_waitcnt lgkmcnt(0)
	v_mul_f32_e32 v7, v180, v11
	v_mul_f64 v[40:41], v[72:73], s[0:1]
	v_mul_f32_e32 v50, v174, v27
	v_mul_f64 v[42:43], v[74:75], s[0:1]
	v_cvt_f64_f32_e32 v[44:45], v5
	v_fmac_f32_e32 v7, v179, v10
	v_mul_f32_e32 v10, v180, v10
	v_mul_f64 v[18:19], v[30:31], s[0:1]
	v_cvt_f64_f32_e32 v[30:31], v4
	v_mul_f32_e32 v51, v174, v26
	v_cvt_f64_f32_e32 v[46:47], v7
	v_fma_f32 v4, v179, v11, -v10
	v_add_co_u32 v10, vcc_lo, v70, s3
	v_add_co_ci_u32_e32 v11, vcc_lo, s2, v71, vcc_lo
	v_cvt_f64_f32_e32 v[48:49], v4
	ds_read2_b64 v[4:7], v6 offset0:144 offset1:160
	v_cvt_f32_f64_e32 v0, v[0:1]
	v_cvt_f32_f64_e32 v1, v[22:23]
	;; [unrolled: 1-line block ×3, first 2 shown]
	v_add_co_u32 v22, vcc_lo, v10, s3
	v_cvt_f32_f64_e32 v39, v[40:41]
	v_add_co_ci_u32_e32 v23, vcc_lo, s2, v11, vcc_lo
	v_cvt_f32_f64_e32 v42, v[42:43]
	v_fmac_f32_e32 v54, v171, v34
	v_mul_f32_e32 v34, v172, v34
	v_cvt_f32_f64_e32 v43, v[18:19]
	v_add_co_u32 v40, vcc_lo, v22, s3
	v_add_co_ci_u32_e32 v41, vcc_lo, s2, v23, vcc_lo
	v_fmac_f32_e32 v50, v173, v26
	v_fma_f32 v26, v173, v27, -v51
	v_fma_f32 v34, v171, v35, -v34
	s_waitcnt lgkmcnt(0)
	v_mul_f32_e32 v52, v176, v5
	v_mul_f32_e32 v53, v176, v4
	v_mul_f64 v[18:19], v[30:31], s[0:1]
	v_mul_f64 v[30:31], v[44:45], s[0:1]
	;; [unrolled: 1-line block ×3, first 2 shown]
	v_fmac_f32_e32 v52, v175, v4
	v_fma_f32 v51, v175, v5, -v53
	v_mul_f64 v[46:47], v[48:49], s[0:1]
	v_cvt_f64_f32_e32 v[4:5], v50
	v_cvt_f64_f32_e32 v[26:27], v26
	;; [unrolled: 1-line block ×3, first 2 shown]
	v_add_co_u32 v52, vcc_lo, v40, s3
	v_add_co_ci_u32_e32 v53, vcc_lo, s2, v41, vcc_lo
	v_cvt_f64_f32_e32 v[50:51], v51
	v_cvt_f64_f32_e32 v[54:55], v54
	global_store_dwordx2 v[10:11], v[16:17], off
	global_store_dwordx2 v[22:23], v[0:1], off
	;; [unrolled: 1-line block ×4, first 2 shown]
	v_cvt_f64_f32_e32 v[0:1], v34
	v_mul_f32_e32 v38, v166, v25
	v_mul_f32_e32 v39, v166, v24
	v_mul_f32_e32 v40, v178, v9
	v_mul_f32_e32 v41, v178, v8
	v_add_co_u32 v16, vcc_lo, v52, s3
	v_cvt_f32_f64_e32 v11, v[30:31]
	v_fmac_f32_e32 v38, v165, v24
	v_fma_f32 v24, v165, v25, -v39
	v_fmac_f32_e32 v40, v177, v8
	v_fma_f32 v41, v177, v9, -v41
	v_mul_f64 v[4:5], v[4:5], s[0:1]
	v_mul_f64 v[22:23], v[26:27], s[0:1]
	v_mul_f64 v[26:27], v[48:49], s[0:1]
	v_cvt_f64_f32_e32 v[8:9], v38
	v_cvt_f64_f32_e32 v[24:25], v24
	;; [unrolled: 1-line block ×4, first 2 shown]
	v_mul_f64 v[30:31], v[50:51], s[0:1]
	v_mul_f64 v[34:35], v[54:55], s[0:1]
	v_cvt_f32_f64_e32 v10, v[18:19]
	v_mul_f64 v[0:1], v[0:1], s[0:1]
	v_add_co_ci_u32_e32 v17, vcc_lo, s2, v53, vcc_lo
	v_cvt_f32_f64_e32 v18, v[44:45]
	v_cvt_f32_f64_e32 v19, v[46:47]
	v_add_co_u32 v42, vcc_lo, v16, s3
	v_add_co_ci_u32_e32 v43, vcc_lo, s2, v17, vcc_lo
	v_mul_f32_e32 v44, v170, v3
	v_mul_f32_e32 v46, v168, v15
	;; [unrolled: 1-line block ×3, first 2 shown]
	v_cvt_f32_f64_e32 v4, v[4:5]
	v_cvt_f32_f64_e32 v5, v[22:23]
	;; [unrolled: 1-line block ×3, first 2 shown]
	v_add_co_u32 v22, vcc_lo, v42, s3
	v_add_co_ci_u32_e32 v23, vcc_lo, s2, v43, vcc_lo
	v_cvt_f32_f64_e32 v27, v[30:31]
	v_cvt_f32_f64_e32 v34, v[34:35]
	v_add_co_u32 v30, vcc_lo, v22, s3
	v_cvt_f32_f64_e32 v35, v[0:1]
	v_add_co_ci_u32_e32 v31, vcc_lo, s2, v23, vcc_lo
	v_mul_f64 v[0:1], v[8:9], s[0:1]
	v_mul_f64 v[8:9], v[24:25], s[0:1]
	;; [unrolled: 1-line block ×4, first 2 shown]
	v_add_co_u32 v40, vcc_lo, v30, s3
	v_add_co_ci_u32_e32 v41, vcc_lo, s2, v31, vcc_lo
	global_store_dwordx2 v[16:17], v[10:11], off
	global_store_dwordx2 v[42:43], v[18:19], off
	;; [unrolled: 1-line block ×5, first 2 shown]
	s_clause 0x1
	buffer_load_dword v17, off, s[20:23], 0 offset:24
	buffer_load_dword v18, off, s[20:23], 0 offset:28
	v_fmac_f32_e32 v44, v169, v2
	v_mul_f32_e32 v2, v170, v2
	v_fmac_f32_e32 v46, v167, v14
	v_fma_f32 v49, v167, v15, -v47
	v_cvt_f64_f32_e32 v[44:45], v44
	v_fma_f32 v48, v169, v3, -v2
	v_mad_u64_u32 v[2:3], null, 0xfffff300, s8, v[40:41]
	v_cvt_f32_f64_e32 v4, v[24:25]
	v_cvt_f32_f64_e32 v5, v[38:39]
	s_clause 0x1
	buffer_load_dword v38, off, s[20:23], 0 offset:16
	buffer_load_dword v39, off, s[20:23], 0 offset:20
	v_cvt_f64_f32_e32 v[14:15], v48
	v_cvt_f64_f32_e32 v[46:47], v46
	;; [unrolled: 1-line block ×3, first 2 shown]
	v_cvt_f32_f64_e32 v0, v[0:1]
	v_cvt_f32_f64_e32 v1, v[8:9]
	v_add_nc_u32_e32 v3, s4, v3
	v_add_co_u32 v8, vcc_lo, v2, s3
	v_add_co_ci_u32_e32 v9, vcc_lo, s2, v3, vcc_lo
	v_mul_f64 v[10:11], v[44:45], s[0:1]
	v_mul_f64 v[14:15], v[14:15], s[0:1]
	s_waitcnt vmcnt(2)
	v_mul_f32_e32 v16, v18, v32
	v_mul_f32_e32 v22, v18, v33
	v_mul_f64 v[18:19], v[48:49], s[0:1]
	v_fma_f32 v24, v17, v33, -v16
	s_clause 0x3
	buffer_load_dword v33, off, s[20:23], 0 offset:8
	buffer_load_dword v34, off, s[20:23], 0 offset:12
	buffer_load_dword v40, off, s[20:23], 0
	buffer_load_dword v41, off, s[20:23], 0 offset:4
	v_fmac_f32_e32 v22, v17, v32
	v_mul_f64 v[16:17], v[46:47], s[0:1]
	v_cvt_f64_f32_e32 v[24:25], v24
	s_waitcnt vmcnt(4)
	v_mul_f32_e32 v26, v39, v21
	v_mul_f32_e32 v27, v39, v20
	v_cvt_f64_f32_e32 v[22:23], v22
	v_fmac_f32_e32 v26, v38, v20
	v_fma_f32 v20, v38, v21, -v27
	v_cvt_f64_f32_e32 v[20:21], v20
	s_waitcnt vmcnt(2)
	v_mul_f32_e32 v30, v34, v13
	s_waitcnt vmcnt(0)
	v_mul_f32_e32 v32, v41, v29
	v_mul_f32_e32 v31, v34, v12
	v_fmac_f32_e32 v30, v33, v12
	v_fmac_f32_e32 v32, v40, v28
	v_mul_f32_e32 v28, v41, v28
	s_clause 0x1
	buffer_load_dword v41, off, s[20:23], 0 offset:32
	buffer_load_dword v42, off, s[20:23], 0 offset:36
	v_fma_f32 v31, v33, v13, -v31
	v_cvt_f64_f32_e32 v[12:13], v26
	v_cvt_f64_f32_e32 v[26:27], v30
	v_fma_f32 v28, v40, v29, -v28
	v_cvt_f64_f32_e32 v[32:33], v32
	v_cvt_f64_f32_e32 v[30:31], v31
	s_waitcnt vmcnt(0)
	v_mul_f32_e32 v34, v42, v7
	v_mul_f32_e32 v35, v42, v6
	s_clause 0x1
	buffer_load_dword v42, off, s[20:23], 0 offset:40
	buffer_load_dword v43, off, s[20:23], 0 offset:44
	global_store_dwordx2 v[2:3], v[0:1], off
	global_store_dwordx2 v[8:9], v[4:5], off
	v_mul_f64 v[2:3], v[22:23], s[0:1]
	v_fmac_f32_e32 v34, v41, v6
	v_fma_f32 v35, v41, v7, -v35
	v_cvt_f64_f32_e32 v[6:7], v28
	v_mul_f64 v[4:5], v[24:25], s[0:1]
	v_cvt_f32_f64_e32 v0, v[10:11]
	v_cvt_f64_f32_e32 v[28:29], v34
	v_cvt_f64_f32_e32 v[34:35], v35
	v_mul_f64 v[10:11], v[12:13], s[0:1]
	v_mul_f64 v[12:13], v[20:21], s[0:1]
	v_cvt_f32_f64_e32 v1, v[14:15]
	v_cvt_f32_f64_e32 v14, v[16:17]
	;; [unrolled: 1-line block ×3, first 2 shown]
	v_mul_f64 v[16:17], v[26:27], s[0:1]
	v_mul_f64 v[18:19], v[30:31], s[0:1]
	;; [unrolled: 1-line block ×3, first 2 shown]
	v_add_co_u32 v8, vcc_lo, v8, s3
	v_add_co_ci_u32_e32 v9, vcc_lo, s2, v9, vcc_lo
	v_add_co_u32 v30, vcc_lo, v8, s3
	v_add_co_ci_u32_e32 v31, vcc_lo, s2, v9, vcc_lo
	v_mul_f64 v[6:7], v[6:7], s[0:1]
	v_cvt_f32_f64_e32 v2, v[2:3]
	v_cvt_f32_f64_e32 v3, v[4:5]
	v_mul_f64 v[22:23], v[28:29], s[0:1]
	v_mul_f64 v[24:25], v[34:35], s[0:1]
	v_add_co_u32 v4, vcc_lo, v30, s3
	v_add_co_ci_u32_e32 v5, vcc_lo, s2, v31, vcc_lo
	v_cvt_f32_f64_e32 v10, v[10:11]
	v_cvt_f32_f64_e32 v11, v[12:13]
	v_add_co_u32 v12, vcc_lo, v4, s3
	v_add_co_ci_u32_e32 v13, vcc_lo, s2, v5, vcc_lo
	v_cvt_f32_f64_e32 v16, v[16:17]
	v_cvt_f32_f64_e32 v17, v[18:19]
	;; [unrolled: 1-line block ×3, first 2 shown]
	global_store_dwordx2 v[8:9], v[0:1], off
	global_store_dwordx2 v[30:31], v[14:15], off
	v_cvt_f32_f64_e32 v19, v[6:7]
	global_store_dwordx2 v[4:5], v[2:3], off
	v_cvt_f32_f64_e32 v6, v[22:23]
	v_cvt_f32_f64_e32 v7, v[24:25]
	v_add_co_u32 v22, vcc_lo, v12, s3
	v_add_co_ci_u32_e32 v23, vcc_lo, s2, v13, vcc_lo
	v_add_co_u32 v0, vcc_lo, v22, s3
	v_add_co_ci_u32_e32 v1, vcc_lo, s2, v23, vcc_lo
	;; [unrolled: 2-line block ×4, first 2 shown]
	s_waitcnt vmcnt(0)
	v_mul_f32_e32 v38, v43, v37
	v_mul_f32_e32 v39, v43, v36
	v_fmac_f32_e32 v38, v42, v36
	v_fma_f32 v39, v42, v37, -v39
	v_cvt_f64_f32_e32 v[36:37], v38
	v_cvt_f64_f32_e32 v[38:39], v39
	v_mul_f64 v[26:27], v[36:37], s[0:1]
	v_mul_f64 v[28:29], v[38:39], s[0:1]
	v_cvt_f32_f64_e32 v20, v[26:27]
	v_cvt_f32_f64_e32 v21, v[28:29]
	global_store_dwordx2 v[12:13], v[10:11], off
	global_store_dwordx2 v[22:23], v[16:17], off
	;; [unrolled: 1-line block ×5, first 2 shown]
.LBB0_10:
	s_endpgm
	.section	.rodata,"a",@progbits
	.p2align	6, 0x0
	.amdhsa_kernel bluestein_single_back_len480_dim1_sp_op_CI_CI
		.amdhsa_group_segment_fixed_size 15360
		.amdhsa_private_segment_fixed_size 72
		.amdhsa_kernarg_size 104
		.amdhsa_user_sgpr_count 6
		.amdhsa_user_sgpr_private_segment_buffer 1
		.amdhsa_user_sgpr_dispatch_ptr 0
		.amdhsa_user_sgpr_queue_ptr 0
		.amdhsa_user_sgpr_kernarg_segment_ptr 1
		.amdhsa_user_sgpr_dispatch_id 0
		.amdhsa_user_sgpr_flat_scratch_init 0
		.amdhsa_user_sgpr_private_segment_size 0
		.amdhsa_wavefront_size32 1
		.amdhsa_uses_dynamic_stack 0
		.amdhsa_system_sgpr_private_segment_wavefront_offset 1
		.amdhsa_system_sgpr_workgroup_id_x 1
		.amdhsa_system_sgpr_workgroup_id_y 0
		.amdhsa_system_sgpr_workgroup_id_z 0
		.amdhsa_system_sgpr_workgroup_info 0
		.amdhsa_system_vgpr_workitem_id 0
		.amdhsa_next_free_vgpr 256
		.amdhsa_next_free_sgpr 24
		.amdhsa_reserve_vcc 1
		.amdhsa_reserve_flat_scratch 0
		.amdhsa_float_round_mode_32 0
		.amdhsa_float_round_mode_16_64 0
		.amdhsa_float_denorm_mode_32 3
		.amdhsa_float_denorm_mode_16_64 3
		.amdhsa_dx10_clamp 1
		.amdhsa_ieee_mode 1
		.amdhsa_fp16_overflow 0
		.amdhsa_workgroup_processor_mode 1
		.amdhsa_memory_ordered 1
		.amdhsa_forward_progress 0
		.amdhsa_shared_vgpr_count 0
		.amdhsa_exception_fp_ieee_invalid_op 0
		.amdhsa_exception_fp_denorm_src 0
		.amdhsa_exception_fp_ieee_div_zero 0
		.amdhsa_exception_fp_ieee_overflow 0
		.amdhsa_exception_fp_ieee_underflow 0
		.amdhsa_exception_fp_ieee_inexact 0
		.amdhsa_exception_int_div_zero 0
	.end_amdhsa_kernel
	.text
.Lfunc_end0:
	.size	bluestein_single_back_len480_dim1_sp_op_CI_CI, .Lfunc_end0-bluestein_single_back_len480_dim1_sp_op_CI_CI
                                        ; -- End function
	.section	.AMDGPU.csdata,"",@progbits
; Kernel info:
; codeLenInByte = 21516
; NumSgprs: 26
; NumVgprs: 256
; ScratchSize: 72
; MemoryBound: 0
; FloatMode: 240
; IeeeMode: 1
; LDSByteSize: 15360 bytes/workgroup (compile time only)
; SGPRBlocks: 3
; VGPRBlocks: 31
; NumSGPRsForWavesPerEU: 26
; NumVGPRsForWavesPerEU: 256
; Occupancy: 4
; WaveLimiterHint : 1
; COMPUTE_PGM_RSRC2:SCRATCH_EN: 1
; COMPUTE_PGM_RSRC2:USER_SGPR: 6
; COMPUTE_PGM_RSRC2:TRAP_HANDLER: 0
; COMPUTE_PGM_RSRC2:TGID_X_EN: 1
; COMPUTE_PGM_RSRC2:TGID_Y_EN: 0
; COMPUTE_PGM_RSRC2:TGID_Z_EN: 0
; COMPUTE_PGM_RSRC2:TIDIG_COMP_CNT: 0
	.text
	.p2alignl 6, 3214868480
	.fill 48, 4, 3214868480
	.type	__hip_cuid_eceab13d0c57fdd7,@object ; @__hip_cuid_eceab13d0c57fdd7
	.section	.bss,"aw",@nobits
	.globl	__hip_cuid_eceab13d0c57fdd7
__hip_cuid_eceab13d0c57fdd7:
	.byte	0                               ; 0x0
	.size	__hip_cuid_eceab13d0c57fdd7, 1

	.ident	"AMD clang version 19.0.0git (https://github.com/RadeonOpenCompute/llvm-project roc-6.4.0 25133 c7fe45cf4b819c5991fe208aaa96edf142730f1d)"
	.section	".note.GNU-stack","",@progbits
	.addrsig
	.addrsig_sym __hip_cuid_eceab13d0c57fdd7
	.amdgpu_metadata
---
amdhsa.kernels:
  - .args:
      - .actual_access:  read_only
        .address_space:  global
        .offset:         0
        .size:           8
        .value_kind:     global_buffer
      - .actual_access:  read_only
        .address_space:  global
        .offset:         8
        .size:           8
        .value_kind:     global_buffer
      - .actual_access:  read_only
        .address_space:  global
        .offset:         16
        .size:           8
        .value_kind:     global_buffer
      - .actual_access:  read_only
        .address_space:  global
        .offset:         24
        .size:           8
        .value_kind:     global_buffer
      - .actual_access:  read_only
        .address_space:  global
        .offset:         32
        .size:           8
        .value_kind:     global_buffer
      - .offset:         40
        .size:           8
        .value_kind:     by_value
      - .address_space:  global
        .offset:         48
        .size:           8
        .value_kind:     global_buffer
      - .address_space:  global
        .offset:         56
        .size:           8
        .value_kind:     global_buffer
      - .address_space:  global
        .offset:         64
        .size:           8
        .value_kind:     global_buffer
      - .address_space:  global
        .offset:         72
        .size:           8
        .value_kind:     global_buffer
      - .offset:         80
        .size:           4
        .value_kind:     by_value
      - .address_space:  global
        .offset:         88
        .size:           8
        .value_kind:     global_buffer
      - .address_space:  global
        .offset:         96
        .size:           8
        .value_kind:     global_buffer
    .group_segment_fixed_size: 15360
    .kernarg_segment_align: 8
    .kernarg_segment_size: 104
    .language:       OpenCL C
    .language_version:
      - 2
      - 0
    .max_flat_workgroup_size: 64
    .name:           bluestein_single_back_len480_dim1_sp_op_CI_CI
    .private_segment_fixed_size: 72
    .sgpr_count:     26
    .sgpr_spill_count: 0
    .symbol:         bluestein_single_back_len480_dim1_sp_op_CI_CI.kd
    .uniform_work_group_size: 1
    .uses_dynamic_stack: false
    .vgpr_count:     256
    .vgpr_spill_count: 17
    .wavefront_size: 32
    .workgroup_processor_mode: 1
amdhsa.target:   amdgcn-amd-amdhsa--gfx1030
amdhsa.version:
  - 1
  - 2
...

	.end_amdgpu_metadata
